;; amdgpu-corpus repo=ROCm/hipCUB kind=compiled arch=gfx90a opt=O3
	.text
	.amdgcn_target "amdgcn-amd-amdhsa--gfx90a"
	.amdhsa_code_object_version 6
	.section	.text._Z11rank_kernelILj193ELj2ELj4ELb1EL18RadixRankAlgorithm0E12hip_bfloat16EvPKT4_Pijj,"axG",@progbits,_Z11rank_kernelILj193ELj2ELj4ELb1EL18RadixRankAlgorithm0E12hip_bfloat16EvPKT4_Pijj,comdat
	.protected	_Z11rank_kernelILj193ELj2ELj4ELb1EL18RadixRankAlgorithm0E12hip_bfloat16EvPKT4_Pijj ; -- Begin function _Z11rank_kernelILj193ELj2ELj4ELb1EL18RadixRankAlgorithm0E12hip_bfloat16EvPKT4_Pijj
	.globl	_Z11rank_kernelILj193ELj2ELj4ELb1EL18RadixRankAlgorithm0E12hip_bfloat16EvPKT4_Pijj
	.p2align	8
	.type	_Z11rank_kernelILj193ELj2ELj4ELb1EL18RadixRankAlgorithm0E12hip_bfloat16EvPKT4_Pijj,@function
_Z11rank_kernelILj193ELj2ELj4ELb1EL18RadixRankAlgorithm0E12hip_bfloat16EvPKT4_Pijj: ; @_Z11rank_kernelILj193ELj2ELj4ELb1EL18RadixRankAlgorithm0E12hip_bfloat16EvPKT4_Pijj
; %bb.0:
	s_load_dwordx4 s[0:3], s[4:5], 0x0
	s_mulk_i32 s6, 0x182
	s_mov_b32 s7, 0
	s_lshl_b64 s[8:9], s[6:7], 1
	v_lshlrev_b32_e32 v5, 2, v0
	s_waitcnt lgkmcnt(0)
	s_add_u32 s0, s0, s8
	s_addc_u32 s1, s1, s9
	global_load_dword v8, v5, s[0:1]
	v_sub_u32_e32 v1, 0x546, v0
	s_mov_b32 s0, 0x1539095
	v_mul_hi_u32 v1, v1, s0
	v_add_u32_e32 v3, 3, v1
	v_add_u32_e32 v4, 1, v1
	;; [unrolled: 1-line block ×3, first 2 shown]
	v_lshlrev_b32_e32 v2, 1, v0
	v_mov_b32_e32 v9, 0
	v_and_b32_e32 v10, 14, v3
	v_mov_b32_e32 v3, v4
	s_mov_b64 s[8:9], 0
	s_mov_b32 s12, s7
	v_pk_mov_b32 v[6:7], v[0:1], v[0:1] op_sel:[0,1]
	s_branch .LBB0_2
.LBB0_1:                                ;   in Loop: Header=BB0_2 Depth=1
	s_or_b64 exec, exec, s[0:1]
	s_add_i32 s12, s12, 2
	v_cmp_eq_u32_e32 vcc, s12, v10
	v_add_u32_e32 v7, 0x182, v7
	s_or_b64 s[8:9], vcc, s[8:9]
	v_add_u32_e32 v6, 0x182, v6
	s_andn2_b64 exec, exec, s[8:9]
	s_cbranch_execz .LBB0_6
.LBB0_2:                                ; =>This Inner Loop Header: Depth=1
	s_or_b32 s0, s12, 1
	v_cmp_le_u32_e32 vcc, s0, v3
	v_cmp_le_u32_e64 s[0:1], s12, v4
	s_and_saveexec_b64 s[10:11], s[0:1]
	s_cbranch_execz .LBB0_4
; %bb.3:                                ;   in Loop: Header=BB0_2 Depth=1
	v_lshlrev_b32_e32 v1, 2, v6
	ds_write_b32 v1, v9
.LBB0_4:                                ;   in Loop: Header=BB0_2 Depth=1
	s_or_b64 exec, exec, s[10:11]
	s_and_saveexec_b64 s[0:1], vcc
	s_cbranch_execz .LBB0_1
; %bb.5:                                ;   in Loop: Header=BB0_2 Depth=1
	v_lshlrev_b32_e32 v1, 2, v7
	ds_write_b32 v1, v9
	s_branch .LBB0_1
.LBB0_6:
	s_or_b64 exec, exec, s[8:9]
	s_load_dwordx2 s[0:1], s[4:5], 0x10
	v_mov_b32_e32 v4, 0xffff8000
	s_waitcnt vmcnt(0)
	v_cmp_lt_i16_e32 vcc, -1, v8
	v_cndmask_b32_e32 v1, -1, v4, vcc
	v_xor_b32_e32 v1, v1, v8
	s_waitcnt lgkmcnt(0)
	s_and_b32 s1, s1, 31
	s_cmp_eq_u32 s1, 0
	s_cselect_b64 s[4:5], -1, 0
	s_and_b32 s0, s0, 31
	s_movk_i32 s8, 0x7fff
	s_add_i32 s0, s0, s1
	v_cmp_ne_u16_e32 vcc, s8, v1
	s_sub_i32 s0, 32, s0
	v_cndmask_b32_e32 v1, v4, v1, vcc
	s_sub_i32 s1, 32, s1
	v_lshlrev_b32_sdwa v1, s0, v1 dst_sel:DWORD dst_unused:UNUSED_PAD src0_sel:DWORD src1_sel:WORD_0
	v_bfe_u32 v1, v1, s1, 16
	v_mov_b32_e32 v6, -1
	v_xor_b32_e32 v1, 15, v1
	v_cmp_gt_i16_sdwa vcc, v8, v6 src0_sel:WORD_1 src1_sel:DWORD
	v_cndmask_b32_e64 v1, v1, 15, s[4:5]
	v_cndmask_b32_e32 v6, -1, v4, vcc
	v_and_b32_e32 v3, 7, v1
	v_xor_b32_sdwa v6, v6, v8 dst_sel:DWORD dst_unused:UNUSED_PAD src0_sel:DWORD src1_sel:WORD_1
	v_mul_u32_u24_e32 v3, 0xc1, v3
	v_cmp_ne_u16_e32 vcc, s8, v6
	v_lshrrev_b32_e32 v1, 3, v1
	v_add_lshl_u32 v3, v3, v0, 1
	v_cndmask_b32_e32 v4, v4, v6, vcc
	v_add_lshl_u32 v3, v3, v1, 1
	v_lshlrev_b32_sdwa v4, s0, v4 dst_sel:DWORD dst_unused:UNUSED_PAD src0_sel:DWORD src1_sel:WORD_0
	ds_read_u16 v1, v3
	v_bfe_u32 v4, v4, s1, 16
	v_xor_b32_e32 v4, 15, v4
	v_cndmask_b32_e64 v4, v4, 15, s[4:5]
	v_and_b32_e32 v6, 7, v4
	v_mul_u32_u24_e32 v6, 0xc1, v6
	s_waitcnt lgkmcnt(0)
	v_add_u16_e32 v7, 1, v1
	v_lshrrev_b32_e32 v4, 3, v4
	v_add_lshl_u32 v6, v6, v0, 1
	ds_write_b16 v3, v7
	v_add_lshl_u32 v6, v6, v4, 1
	ds_read_u16 v4, v6
	s_waitcnt lgkmcnt(0)
	v_add_u16_e32 v7, 1, v4
	ds_write_b16 v6, v7
	v_lshlrev_b32_e32 v7, 5, v0
	s_waitcnt lgkmcnt(0)
	s_barrier
	ds_read2_b32 v[8:9], v7 offset1:1
	ds_read2_b32 v[10:11], v7 offset0:2 offset1:3
	ds_read2_b32 v[12:13], v7 offset0:4 offset1:5
	;; [unrolled: 1-line block ×3, first 2 shown]
	s_waitcnt lgkmcnt(3)
	v_add_u32_e32 v8, v9, v8
	s_waitcnt lgkmcnt(2)
	v_add3_u32 v8, v8, v10, v11
	s_waitcnt lgkmcnt(1)
	v_add3_u32 v8, v8, v12, v13
	;; [unrolled: 2-line block ×3, first 2 shown]
	v_mbcnt_lo_u32_b32 v8, -1, 0
	v_mbcnt_hi_u32_b32 v8, -1, v8
	v_and_b32_e32 v10, 15, v8
	v_mov_b32_dpp v11, v9 row_shr:1 row_mask:0xf bank_mask:0xf
	v_cmp_ne_u32_e32 vcc, 0, v10
	v_cndmask_b32_e32 v11, 0, v11, vcc
	v_add_u32_e32 v9, v11, v9
	v_cmp_lt_u32_e32 vcc, 1, v10
	s_nop 0
	v_mov_b32_dpp v11, v9 row_shr:2 row_mask:0xf bank_mask:0xf
	v_cndmask_b32_e32 v11, 0, v11, vcc
	v_add_u32_e32 v9, v9, v11
	v_cmp_lt_u32_e32 vcc, 3, v10
	s_nop 0
	v_mov_b32_dpp v11, v9 row_shr:4 row_mask:0xf bank_mask:0xf
	;; [unrolled: 5-line block ×3, first 2 shown]
	v_cndmask_b32_e32 v10, 0, v11, vcc
	v_add_u32_e32 v9, v9, v10
	v_bfe_i32 v11, v8, 4, 1
	v_cmp_lt_u32_e32 vcc, 31, v8
	v_mov_b32_dpp v10, v9 row_bcast:15 row_mask:0xf bank_mask:0xf
	v_and_b32_e32 v10, v11, v10
	v_add_u32_e32 v9, v9, v10
	v_and_b32_e32 v11, 0xc0, v0
	v_min_u32_e32 v11, 0x81, v11
	v_mov_b32_dpp v10, v9 row_bcast:31 row_mask:0xf bank_mask:0xf
	v_cndmask_b32_e32 v10, 0, v10, vcc
	v_add_u32_e32 v9, v9, v10
	v_lshrrev_b32_e32 v10, 6, v0
	v_add_u32_e32 v11, 63, v11
	v_cmp_eq_u32_e32 vcc, v11, v0
	v_lshlrev_b32_e32 v10, 2, v10
	s_and_saveexec_b64 s[0:1], vcc
	s_cbranch_execz .LBB0_8
; %bb.7:
	ds_write_b32 v10, v9 offset:6176
.LBB0_8:
	s_or_b64 exec, exec, s[0:1]
	v_cmp_gt_u32_e32 vcc, 4, v0
	s_waitcnt lgkmcnt(0)
	s_barrier
	s_and_saveexec_b64 s[0:1], vcc
	s_cbranch_execz .LBB0_10
; %bb.9:
	ds_read_b32 v11, v5 offset:6176
	v_and_b32_e32 v12, 3, v8
	v_cmp_ne_u32_e32 vcc, 0, v12
	s_waitcnt lgkmcnt(0)
	v_mov_b32_dpp v13, v11 row_shr:1 row_mask:0xf bank_mask:0xf
	v_cndmask_b32_e32 v13, 0, v13, vcc
	v_add_u32_e32 v11, v13, v11
	v_cmp_lt_u32_e32 vcc, 1, v12
	s_nop 0
	v_mov_b32_dpp v13, v11 row_shr:2 row_mask:0xf bank_mask:0xf
	v_cndmask_b32_e32 v12, 0, v13, vcc
	v_add_u32_e32 v11, v11, v12
	ds_write_b32 v5, v11 offset:6176
.LBB0_10:
	s_or_b64 exec, exec, s[0:1]
	v_cmp_lt_u32_e32 vcc, 63, v0
	v_mov_b32_e32 v0, 0
	v_mov_b32_e32 v5, 0
	s_waitcnt lgkmcnt(0)
	s_barrier
	s_and_saveexec_b64 s[0:1], vcc
	s_cbranch_execz .LBB0_12
; %bb.11:
	ds_read_b32 v5, v10 offset:6172
.LBB0_12:
	s_or_b64 exec, exec, s[0:1]
	v_add_u32_e32 v10, -1, v8
	v_and_b32_e32 v11, 64, v8
	v_cmp_lt_i32_e32 vcc, v10, v11
	v_cndmask_b32_e32 v10, v10, v8, vcc
	s_waitcnt lgkmcnt(0)
	v_add_u32_e32 v9, v5, v9
	v_lshlrev_b32_e32 v10, 2, v10
	ds_bpermute_b32 v9, v10, v9
	ds_read_b32 v0, v0 offset:6188
	v_cmp_eq_u32_e32 vcc, 0, v8
	s_lshl_b64 s[0:1], s[6:7], 2
	s_add_u32 s0, s2, s0
	s_waitcnt lgkmcnt(1)
	v_cndmask_b32_e32 v5, v9, v5, vcc
	ds_read2_b32 v[8:9], v7 offset1:1
	s_waitcnt lgkmcnt(1)
	v_lshl_add_u32 v0, v0, 16, v5
	ds_read2_b32 v[10:11], v7 offset0:2 offset1:3
	ds_read2_b32 v[12:13], v7 offset0:4 offset1:5
	ds_read_b32 v5, v7 offset:24
	s_addc_u32 s1, s3, s1
	v_lshlrev_b32_e32 v2, 2, v2
	s_waitcnt lgkmcnt(3)
	v_add_u32_e32 v8, v0, v8
	ds_write2_b32 v7, v0, v8 offset1:1
	v_add_u32_e32 v0, v9, v8
	s_waitcnt lgkmcnt(3)
	v_add_u32_e32 v8, v10, v0
	ds_write2_b32 v7, v0, v8 offset0:2 offset1:3
	v_add_u32_e32 v0, v11, v8
	s_waitcnt lgkmcnt(3)
	v_add_u32_e32 v8, v12, v0
	ds_write2_b32 v7, v0, v8 offset0:4 offset1:5
	;; [unrolled: 4-line block ×3, first 2 shown]
	s_waitcnt lgkmcnt(0)
	s_barrier
	ds_read_u16 v0, v3
	ds_read_u16 v3, v6
	s_waitcnt lgkmcnt(1)
	v_add_u32_sdwa v0, v0, v1 dst_sel:DWORD dst_unused:UNUSED_PAD src0_sel:DWORD src1_sel:WORD_0
	s_waitcnt lgkmcnt(0)
	v_add_u32_sdwa v1, v3, v4 dst_sel:DWORD dst_unused:UNUSED_PAD src0_sel:DWORD src1_sel:WORD_0
	global_store_dwordx2 v2, v[0:1], s[0:1]
	s_endpgm
	.section	.rodata,"a",@progbits
	.p2align	6, 0x0
	.amdhsa_kernel _Z11rank_kernelILj193ELj2ELj4ELb1EL18RadixRankAlgorithm0E12hip_bfloat16EvPKT4_Pijj
		.amdhsa_group_segment_fixed_size 6192
		.amdhsa_private_segment_fixed_size 0
		.amdhsa_kernarg_size 24
		.amdhsa_user_sgpr_count 6
		.amdhsa_user_sgpr_private_segment_buffer 1
		.amdhsa_user_sgpr_dispatch_ptr 0
		.amdhsa_user_sgpr_queue_ptr 0
		.amdhsa_user_sgpr_kernarg_segment_ptr 1
		.amdhsa_user_sgpr_dispatch_id 0
		.amdhsa_user_sgpr_flat_scratch_init 0
		.amdhsa_user_sgpr_kernarg_preload_length 0
		.amdhsa_user_sgpr_kernarg_preload_offset 0
		.amdhsa_user_sgpr_private_segment_size 0
		.amdhsa_uses_dynamic_stack 0
		.amdhsa_system_sgpr_private_segment_wavefront_offset 0
		.amdhsa_system_sgpr_workgroup_id_x 1
		.amdhsa_system_sgpr_workgroup_id_y 0
		.amdhsa_system_sgpr_workgroup_id_z 0
		.amdhsa_system_sgpr_workgroup_info 0
		.amdhsa_system_vgpr_workitem_id 0
		.amdhsa_next_free_vgpr 16
		.amdhsa_next_free_sgpr 13
		.amdhsa_accum_offset 16
		.amdhsa_reserve_vcc 1
		.amdhsa_reserve_flat_scratch 0
		.amdhsa_float_round_mode_32 0
		.amdhsa_float_round_mode_16_64 0
		.amdhsa_float_denorm_mode_32 3
		.amdhsa_float_denorm_mode_16_64 3
		.amdhsa_dx10_clamp 1
		.amdhsa_ieee_mode 1
		.amdhsa_fp16_overflow 0
		.amdhsa_tg_split 0
		.amdhsa_exception_fp_ieee_invalid_op 0
		.amdhsa_exception_fp_denorm_src 0
		.amdhsa_exception_fp_ieee_div_zero 0
		.amdhsa_exception_fp_ieee_overflow 0
		.amdhsa_exception_fp_ieee_underflow 0
		.amdhsa_exception_fp_ieee_inexact 0
		.amdhsa_exception_int_div_zero 0
	.end_amdhsa_kernel
	.section	.text._Z11rank_kernelILj193ELj2ELj4ELb1EL18RadixRankAlgorithm0E12hip_bfloat16EvPKT4_Pijj,"axG",@progbits,_Z11rank_kernelILj193ELj2ELj4ELb1EL18RadixRankAlgorithm0E12hip_bfloat16EvPKT4_Pijj,comdat
.Lfunc_end0:
	.size	_Z11rank_kernelILj193ELj2ELj4ELb1EL18RadixRankAlgorithm0E12hip_bfloat16EvPKT4_Pijj, .Lfunc_end0-_Z11rank_kernelILj193ELj2ELj4ELb1EL18RadixRankAlgorithm0E12hip_bfloat16EvPKT4_Pijj
                                        ; -- End function
	.section	.AMDGPU.csdata,"",@progbits
; Kernel info:
; codeLenInByte = 1184
; NumSgprs: 17
; NumVgprs: 16
; NumAgprs: 0
; TotalNumVgprs: 16
; ScratchSize: 0
; MemoryBound: 0
; FloatMode: 240
; IeeeMode: 1
; LDSByteSize: 6192 bytes/workgroup (compile time only)
; SGPRBlocks: 2
; VGPRBlocks: 1
; NumSGPRsForWavesPerEU: 17
; NumVGPRsForWavesPerEU: 16
; AccumOffset: 16
; Occupancy: 8
; WaveLimiterHint : 0
; COMPUTE_PGM_RSRC2:SCRATCH_EN: 0
; COMPUTE_PGM_RSRC2:USER_SGPR: 6
; COMPUTE_PGM_RSRC2:TRAP_HANDLER: 0
; COMPUTE_PGM_RSRC2:TGID_X_EN: 1
; COMPUTE_PGM_RSRC2:TGID_Y_EN: 0
; COMPUTE_PGM_RSRC2:TGID_Z_EN: 0
; COMPUTE_PGM_RSRC2:TIDIG_COMP_CNT: 0
; COMPUTE_PGM_RSRC3_GFX90A:ACCUM_OFFSET: 3
; COMPUTE_PGM_RSRC3_GFX90A:TG_SPLIT: 0
	.section	.text._Z11rank_kernelILj193ELj2ELj4ELb1EL18RadixRankAlgorithm0E6__halfEvPKT4_Pijj,"axG",@progbits,_Z11rank_kernelILj193ELj2ELj4ELb1EL18RadixRankAlgorithm0E6__halfEvPKT4_Pijj,comdat
	.protected	_Z11rank_kernelILj193ELj2ELj4ELb1EL18RadixRankAlgorithm0E6__halfEvPKT4_Pijj ; -- Begin function _Z11rank_kernelILj193ELj2ELj4ELb1EL18RadixRankAlgorithm0E6__halfEvPKT4_Pijj
	.globl	_Z11rank_kernelILj193ELj2ELj4ELb1EL18RadixRankAlgorithm0E6__halfEvPKT4_Pijj
	.p2align	8
	.type	_Z11rank_kernelILj193ELj2ELj4ELb1EL18RadixRankAlgorithm0E6__halfEvPKT4_Pijj,@function
_Z11rank_kernelILj193ELj2ELj4ELb1EL18RadixRankAlgorithm0E6__halfEvPKT4_Pijj: ; @_Z11rank_kernelILj193ELj2ELj4ELb1EL18RadixRankAlgorithm0E6__halfEvPKT4_Pijj
; %bb.0:
	s_load_dwordx4 s[0:3], s[4:5], 0x0
	s_mulk_i32 s6, 0x182
	s_mov_b32 s7, 0
	s_lshl_b64 s[8:9], s[6:7], 1
	v_lshlrev_b32_e32 v5, 2, v0
	s_waitcnt lgkmcnt(0)
	s_add_u32 s0, s0, s8
	s_addc_u32 s1, s1, s9
	global_load_dword v8, v5, s[0:1]
	v_sub_u32_e32 v1, 0x546, v0
	s_mov_b32 s0, 0x1539095
	v_mul_hi_u32 v1, v1, s0
	v_add_u32_e32 v3, 3, v1
	v_add_u32_e32 v4, 1, v1
	;; [unrolled: 1-line block ×3, first 2 shown]
	v_lshlrev_b32_e32 v2, 1, v0
	v_mov_b32_e32 v9, 0
	v_and_b32_e32 v10, 14, v3
	v_mov_b32_e32 v3, v4
	s_mov_b64 s[8:9], 0
	s_mov_b32 s12, s7
	v_pk_mov_b32 v[6:7], v[0:1], v[0:1] op_sel:[0,1]
	s_branch .LBB1_2
.LBB1_1:                                ;   in Loop: Header=BB1_2 Depth=1
	s_or_b64 exec, exec, s[0:1]
	s_add_i32 s12, s12, 2
	v_cmp_eq_u32_e32 vcc, s12, v10
	v_add_u32_e32 v7, 0x182, v7
	s_or_b64 s[8:9], vcc, s[8:9]
	v_add_u32_e32 v6, 0x182, v6
	s_andn2_b64 exec, exec, s[8:9]
	s_cbranch_execz .LBB1_6
.LBB1_2:                                ; =>This Inner Loop Header: Depth=1
	s_or_b32 s0, s12, 1
	v_cmp_le_u32_e32 vcc, s0, v3
	v_cmp_le_u32_e64 s[0:1], s12, v4
	s_and_saveexec_b64 s[10:11], s[0:1]
	s_cbranch_execz .LBB1_4
; %bb.3:                                ;   in Loop: Header=BB1_2 Depth=1
	v_lshlrev_b32_e32 v1, 2, v6
	ds_write_b32 v1, v9
.LBB1_4:                                ;   in Loop: Header=BB1_2 Depth=1
	s_or_b64 exec, exec, s[10:11]
	s_and_saveexec_b64 s[0:1], vcc
	s_cbranch_execz .LBB1_1
; %bb.5:                                ;   in Loop: Header=BB1_2 Depth=1
	v_lshlrev_b32_e32 v1, 2, v7
	ds_write_b32 v1, v9
	s_branch .LBB1_1
.LBB1_6:
	s_or_b64 exec, exec, s[8:9]
	s_load_dwordx2 s[0:1], s[4:5], 0x10
	v_mov_b32_e32 v4, 0xffff8000
	s_waitcnt vmcnt(0)
	v_cmp_lt_i16_e32 vcc, -1, v8
	v_cndmask_b32_e32 v1, -1, v4, vcc
	v_xor_b32_e32 v1, v1, v8
	s_waitcnt lgkmcnt(0)
	s_and_b32 s1, s1, 31
	s_cmp_eq_u32 s1, 0
	s_cselect_b64 s[4:5], -1, 0
	s_and_b32 s0, s0, 31
	s_movk_i32 s8, 0x7fff
	s_add_i32 s0, s0, s1
	v_cmp_ne_u16_e32 vcc, s8, v1
	s_sub_i32 s0, 32, s0
	v_cndmask_b32_e32 v1, v4, v1, vcc
	s_sub_i32 s1, 32, s1
	v_lshlrev_b32_sdwa v1, s0, v1 dst_sel:DWORD dst_unused:UNUSED_PAD src0_sel:DWORD src1_sel:WORD_0
	v_bfe_u32 v1, v1, s1, 16
	v_mov_b32_e32 v6, -1
	v_xor_b32_e32 v1, 15, v1
	v_cmp_gt_i16_sdwa vcc, v8, v6 src0_sel:WORD_1 src1_sel:DWORD
	v_cndmask_b32_e64 v1, v1, 15, s[4:5]
	v_cndmask_b32_e32 v6, -1, v4, vcc
	v_and_b32_e32 v3, 7, v1
	v_xor_b32_sdwa v6, v6, v8 dst_sel:DWORD dst_unused:UNUSED_PAD src0_sel:DWORD src1_sel:WORD_1
	v_mul_u32_u24_e32 v3, 0xc1, v3
	v_cmp_ne_u16_e32 vcc, s8, v6
	v_lshrrev_b32_e32 v1, 3, v1
	v_add_lshl_u32 v3, v3, v0, 1
	v_cndmask_b32_e32 v4, v4, v6, vcc
	v_add_lshl_u32 v3, v3, v1, 1
	v_lshlrev_b32_sdwa v4, s0, v4 dst_sel:DWORD dst_unused:UNUSED_PAD src0_sel:DWORD src1_sel:WORD_0
	ds_read_u16 v1, v3
	v_bfe_u32 v4, v4, s1, 16
	v_xor_b32_e32 v4, 15, v4
	v_cndmask_b32_e64 v4, v4, 15, s[4:5]
	v_and_b32_e32 v6, 7, v4
	v_mul_u32_u24_e32 v6, 0xc1, v6
	s_waitcnt lgkmcnt(0)
	v_add_u16_e32 v7, 1, v1
	v_lshrrev_b32_e32 v4, 3, v4
	v_add_lshl_u32 v6, v6, v0, 1
	ds_write_b16 v3, v7
	v_add_lshl_u32 v6, v6, v4, 1
	ds_read_u16 v4, v6
	s_waitcnt lgkmcnt(0)
	v_add_u16_e32 v7, 1, v4
	ds_write_b16 v6, v7
	v_lshlrev_b32_e32 v7, 5, v0
	s_waitcnt lgkmcnt(0)
	s_barrier
	ds_read2_b32 v[8:9], v7 offset1:1
	ds_read2_b32 v[10:11], v7 offset0:2 offset1:3
	ds_read2_b32 v[12:13], v7 offset0:4 offset1:5
	;; [unrolled: 1-line block ×3, first 2 shown]
	s_waitcnt lgkmcnt(3)
	v_add_u32_e32 v8, v9, v8
	s_waitcnt lgkmcnt(2)
	v_add3_u32 v8, v8, v10, v11
	s_waitcnt lgkmcnt(1)
	v_add3_u32 v8, v8, v12, v13
	;; [unrolled: 2-line block ×3, first 2 shown]
	v_mbcnt_lo_u32_b32 v8, -1, 0
	v_mbcnt_hi_u32_b32 v8, -1, v8
	v_and_b32_e32 v10, 15, v8
	v_mov_b32_dpp v11, v9 row_shr:1 row_mask:0xf bank_mask:0xf
	v_cmp_ne_u32_e32 vcc, 0, v10
	v_cndmask_b32_e32 v11, 0, v11, vcc
	v_add_u32_e32 v9, v11, v9
	v_cmp_lt_u32_e32 vcc, 1, v10
	s_nop 0
	v_mov_b32_dpp v11, v9 row_shr:2 row_mask:0xf bank_mask:0xf
	v_cndmask_b32_e32 v11, 0, v11, vcc
	v_add_u32_e32 v9, v9, v11
	v_cmp_lt_u32_e32 vcc, 3, v10
	s_nop 0
	v_mov_b32_dpp v11, v9 row_shr:4 row_mask:0xf bank_mask:0xf
	;; [unrolled: 5-line block ×3, first 2 shown]
	v_cndmask_b32_e32 v10, 0, v11, vcc
	v_add_u32_e32 v9, v9, v10
	v_bfe_i32 v11, v8, 4, 1
	v_cmp_lt_u32_e32 vcc, 31, v8
	v_mov_b32_dpp v10, v9 row_bcast:15 row_mask:0xf bank_mask:0xf
	v_and_b32_e32 v10, v11, v10
	v_add_u32_e32 v9, v9, v10
	v_and_b32_e32 v11, 0xc0, v0
	v_min_u32_e32 v11, 0x81, v11
	v_mov_b32_dpp v10, v9 row_bcast:31 row_mask:0xf bank_mask:0xf
	v_cndmask_b32_e32 v10, 0, v10, vcc
	v_add_u32_e32 v9, v9, v10
	v_lshrrev_b32_e32 v10, 6, v0
	v_add_u32_e32 v11, 63, v11
	v_cmp_eq_u32_e32 vcc, v11, v0
	v_lshlrev_b32_e32 v10, 2, v10
	s_and_saveexec_b64 s[0:1], vcc
	s_cbranch_execz .LBB1_8
; %bb.7:
	ds_write_b32 v10, v9 offset:6176
.LBB1_8:
	s_or_b64 exec, exec, s[0:1]
	v_cmp_gt_u32_e32 vcc, 4, v0
	s_waitcnt lgkmcnt(0)
	s_barrier
	s_and_saveexec_b64 s[0:1], vcc
	s_cbranch_execz .LBB1_10
; %bb.9:
	ds_read_b32 v11, v5 offset:6176
	v_and_b32_e32 v12, 3, v8
	v_cmp_ne_u32_e32 vcc, 0, v12
	s_waitcnt lgkmcnt(0)
	v_mov_b32_dpp v13, v11 row_shr:1 row_mask:0xf bank_mask:0xf
	v_cndmask_b32_e32 v13, 0, v13, vcc
	v_add_u32_e32 v11, v13, v11
	v_cmp_lt_u32_e32 vcc, 1, v12
	s_nop 0
	v_mov_b32_dpp v13, v11 row_shr:2 row_mask:0xf bank_mask:0xf
	v_cndmask_b32_e32 v12, 0, v13, vcc
	v_add_u32_e32 v11, v11, v12
	ds_write_b32 v5, v11 offset:6176
.LBB1_10:
	s_or_b64 exec, exec, s[0:1]
	v_cmp_lt_u32_e32 vcc, 63, v0
	v_mov_b32_e32 v0, 0
	v_mov_b32_e32 v5, 0
	s_waitcnt lgkmcnt(0)
	s_barrier
	s_and_saveexec_b64 s[0:1], vcc
	s_cbranch_execz .LBB1_12
; %bb.11:
	ds_read_b32 v5, v10 offset:6172
.LBB1_12:
	s_or_b64 exec, exec, s[0:1]
	v_add_u32_e32 v10, -1, v8
	v_and_b32_e32 v11, 64, v8
	v_cmp_lt_i32_e32 vcc, v10, v11
	v_cndmask_b32_e32 v10, v10, v8, vcc
	s_waitcnt lgkmcnt(0)
	v_add_u32_e32 v9, v5, v9
	v_lshlrev_b32_e32 v10, 2, v10
	ds_bpermute_b32 v9, v10, v9
	ds_read_b32 v0, v0 offset:6188
	v_cmp_eq_u32_e32 vcc, 0, v8
	s_lshl_b64 s[0:1], s[6:7], 2
	s_add_u32 s0, s2, s0
	s_waitcnt lgkmcnt(1)
	v_cndmask_b32_e32 v5, v9, v5, vcc
	ds_read2_b32 v[8:9], v7 offset1:1
	s_waitcnt lgkmcnt(1)
	v_lshl_add_u32 v0, v0, 16, v5
	ds_read2_b32 v[10:11], v7 offset0:2 offset1:3
	ds_read2_b32 v[12:13], v7 offset0:4 offset1:5
	ds_read_b32 v5, v7 offset:24
	s_addc_u32 s1, s3, s1
	v_lshlrev_b32_e32 v2, 2, v2
	s_waitcnt lgkmcnt(3)
	v_add_u32_e32 v8, v0, v8
	ds_write2_b32 v7, v0, v8 offset1:1
	v_add_u32_e32 v0, v9, v8
	s_waitcnt lgkmcnt(3)
	v_add_u32_e32 v8, v10, v0
	ds_write2_b32 v7, v0, v8 offset0:2 offset1:3
	v_add_u32_e32 v0, v11, v8
	s_waitcnt lgkmcnt(3)
	v_add_u32_e32 v8, v12, v0
	ds_write2_b32 v7, v0, v8 offset0:4 offset1:5
	;; [unrolled: 4-line block ×3, first 2 shown]
	s_waitcnt lgkmcnt(0)
	s_barrier
	ds_read_u16 v0, v3
	ds_read_u16 v3, v6
	s_waitcnt lgkmcnt(1)
	v_add_u32_sdwa v0, v0, v1 dst_sel:DWORD dst_unused:UNUSED_PAD src0_sel:DWORD src1_sel:WORD_0
	s_waitcnt lgkmcnt(0)
	v_add_u32_sdwa v1, v3, v4 dst_sel:DWORD dst_unused:UNUSED_PAD src0_sel:DWORD src1_sel:WORD_0
	global_store_dwordx2 v2, v[0:1], s[0:1]
	s_endpgm
	.section	.rodata,"a",@progbits
	.p2align	6, 0x0
	.amdhsa_kernel _Z11rank_kernelILj193ELj2ELj4ELb1EL18RadixRankAlgorithm0E6__halfEvPKT4_Pijj
		.amdhsa_group_segment_fixed_size 6192
		.amdhsa_private_segment_fixed_size 0
		.amdhsa_kernarg_size 24
		.amdhsa_user_sgpr_count 6
		.amdhsa_user_sgpr_private_segment_buffer 1
		.amdhsa_user_sgpr_dispatch_ptr 0
		.amdhsa_user_sgpr_queue_ptr 0
		.amdhsa_user_sgpr_kernarg_segment_ptr 1
		.amdhsa_user_sgpr_dispatch_id 0
		.amdhsa_user_sgpr_flat_scratch_init 0
		.amdhsa_user_sgpr_kernarg_preload_length 0
		.amdhsa_user_sgpr_kernarg_preload_offset 0
		.amdhsa_user_sgpr_private_segment_size 0
		.amdhsa_uses_dynamic_stack 0
		.amdhsa_system_sgpr_private_segment_wavefront_offset 0
		.amdhsa_system_sgpr_workgroup_id_x 1
		.amdhsa_system_sgpr_workgroup_id_y 0
		.amdhsa_system_sgpr_workgroup_id_z 0
		.amdhsa_system_sgpr_workgroup_info 0
		.amdhsa_system_vgpr_workitem_id 0
		.amdhsa_next_free_vgpr 16
		.amdhsa_next_free_sgpr 13
		.amdhsa_accum_offset 16
		.amdhsa_reserve_vcc 1
		.amdhsa_reserve_flat_scratch 0
		.amdhsa_float_round_mode_32 0
		.amdhsa_float_round_mode_16_64 0
		.amdhsa_float_denorm_mode_32 3
		.amdhsa_float_denorm_mode_16_64 3
		.amdhsa_dx10_clamp 1
		.amdhsa_ieee_mode 1
		.amdhsa_fp16_overflow 0
		.amdhsa_tg_split 0
		.amdhsa_exception_fp_ieee_invalid_op 0
		.amdhsa_exception_fp_denorm_src 0
		.amdhsa_exception_fp_ieee_div_zero 0
		.amdhsa_exception_fp_ieee_overflow 0
		.amdhsa_exception_fp_ieee_underflow 0
		.amdhsa_exception_fp_ieee_inexact 0
		.amdhsa_exception_int_div_zero 0
	.end_amdhsa_kernel
	.section	.text._Z11rank_kernelILj193ELj2ELj4ELb1EL18RadixRankAlgorithm0E6__halfEvPKT4_Pijj,"axG",@progbits,_Z11rank_kernelILj193ELj2ELj4ELb1EL18RadixRankAlgorithm0E6__halfEvPKT4_Pijj,comdat
.Lfunc_end1:
	.size	_Z11rank_kernelILj193ELj2ELj4ELb1EL18RadixRankAlgorithm0E6__halfEvPKT4_Pijj, .Lfunc_end1-_Z11rank_kernelILj193ELj2ELj4ELb1EL18RadixRankAlgorithm0E6__halfEvPKT4_Pijj
                                        ; -- End function
	.section	.AMDGPU.csdata,"",@progbits
; Kernel info:
; codeLenInByte = 1184
; NumSgprs: 17
; NumVgprs: 16
; NumAgprs: 0
; TotalNumVgprs: 16
; ScratchSize: 0
; MemoryBound: 0
; FloatMode: 240
; IeeeMode: 1
; LDSByteSize: 6192 bytes/workgroup (compile time only)
; SGPRBlocks: 2
; VGPRBlocks: 1
; NumSGPRsForWavesPerEU: 17
; NumVGPRsForWavesPerEU: 16
; AccumOffset: 16
; Occupancy: 8
; WaveLimiterHint : 0
; COMPUTE_PGM_RSRC2:SCRATCH_EN: 0
; COMPUTE_PGM_RSRC2:USER_SGPR: 6
; COMPUTE_PGM_RSRC2:TRAP_HANDLER: 0
; COMPUTE_PGM_RSRC2:TGID_X_EN: 1
; COMPUTE_PGM_RSRC2:TGID_Y_EN: 0
; COMPUTE_PGM_RSRC2:TGID_Z_EN: 0
; COMPUTE_PGM_RSRC2:TIDIG_COMP_CNT: 0
; COMPUTE_PGM_RSRC3_GFX90A:ACCUM_OFFSET: 3
; COMPUTE_PGM_RSRC3_GFX90A:TG_SPLIT: 0
	.section	.text._Z11rank_kernelILj162ELj2ELj6ELb1EL18RadixRankAlgorithm0EjEvPKT4_Pijj,"axG",@progbits,_Z11rank_kernelILj162ELj2ELj6ELb1EL18RadixRankAlgorithm0EjEvPKT4_Pijj,comdat
	.protected	_Z11rank_kernelILj162ELj2ELj6ELb1EL18RadixRankAlgorithm0EjEvPKT4_Pijj ; -- Begin function _Z11rank_kernelILj162ELj2ELj6ELb1EL18RadixRankAlgorithm0EjEvPKT4_Pijj
	.globl	_Z11rank_kernelILj162ELj2ELj6ELb1EL18RadixRankAlgorithm0EjEvPKT4_Pijj
	.p2align	8
	.type	_Z11rank_kernelILj162ELj2ELj6ELb1EL18RadixRankAlgorithm0EjEvPKT4_Pijj,@function
_Z11rank_kernelILj162ELj2ELj6ELb1EL18RadixRankAlgorithm0EjEvPKT4_Pijj: ; @_Z11rank_kernelILj162ELj2ELj6ELb1EL18RadixRankAlgorithm0EjEvPKT4_Pijj
; %bb.0:
	s_load_dwordx4 s[0:3], s[4:5], 0x0
	s_mulk_i32 s6, 0x144
	s_mov_b32 s7, 0
	s_lshl_b64 s[6:7], s[6:7], 2
	v_lshlrev_b32_e32 v1, 3, v0
	s_waitcnt lgkmcnt(0)
	s_add_u32 s0, s0, s6
	s_addc_u32 s1, s1, s7
	global_load_dwordx2 v[4:5], v1, s[0:1]
	v_sub_u32_e32 v1, 0x139d, v0
	s_mov_b32 s0, 0x1948b10
	v_mul_hi_u32 v1, v1, s0
	v_add_u32_e32 v9, 2, v1
	v_and_b32_e32 v3, 60, v9
	v_add_u32_e32 v1, 0xa2, v0
	v_lshlrev_b32_e32 v2, 1, v0
	v_mov_b32_e32 v8, 0
	s_mov_b64 s[0:1], 0
	v_mov_b32_e32 v10, v3
	v_pk_mov_b32 v[6:7], v[0:1], v[0:1] op_sel:[0,1]
.LBB2_1:                                ; =>This Inner Loop Header: Depth=1
	v_add_u32_e32 v10, -4, v10
	v_cmp_eq_u32_e32 vcc, 0, v10
	v_lshlrev_b32_e32 v1, 2, v7
	v_lshlrev_b32_e32 v11, 2, v6
	v_add_u32_e32 v7, 0x288, v7
	v_add_u32_e32 v6, 0x288, v6
	s_or_b64 s[0:1], vcc, s[0:1]
	ds_write_b32 v11, v8
	ds_write_b32 v1, v8
	ds_write_b32 v11, v8 offset:1296
	ds_write_b32 v1, v8 offset:1296
	s_andn2_b64 exec, exec, s[0:1]
	s_cbranch_execnz .LBB2_1
; %bb.2:
	s_or_b64 exec, exec, s[0:1]
	v_cmp_ne_u32_e32 vcc, v9, v3
	s_and_saveexec_b64 s[0:1], vcc
	s_cbranch_execz .LBB2_5
; %bb.3:
	s_movk_i32 s8, 0xa2
	v_mad_u32_u24 v3, v3, s8, v0
	v_lshlrev_b32_e32 v1, 2, v3
	v_add_u32_e32 v3, 0xffffff5e, v3
	s_mov_b64 s[8:9], 0
	v_mov_b32_e32 v6, 0
	s_movk_i32 s10, 0x139d
.LBB2_4:                                ; =>This Inner Loop Header: Depth=1
	v_add_u32_e32 v3, 0xa2, v3
	v_cmp_lt_u32_e32 vcc, s10, v3
	ds_write_b32 v1, v6
	s_or_b64 s[8:9], vcc, s[8:9]
	v_add_u32_e32 v1, 0x288, v1
	s_andn2_b64 exec, exec, s[8:9]
	s_cbranch_execnz .LBB2_4
.LBB2_5:
	s_or_b64 exec, exec, s[0:1]
	s_load_dwordx2 s[0:1], s[4:5], 0x10
	s_waitcnt lgkmcnt(0)
	s_and_b32 s1, s1, 31
	s_cmp_eq_u32 s1, 0
	s_cselect_b64 s[4:5], -1, 0
	s_and_b32 s0, s0, 31
	s_add_i32 s0, s0, s1
	s_sub_i32 s0, 32, s0
	s_sub_i32 s8, 32, s1
	s_waitcnt vmcnt(0)
	v_lshlrev_b32_e32 v1, s0, v4
	v_lshrrev_b32_e32 v1, s8, v1
	v_xor_b32_e32 v1, 63, v1
	v_cndmask_b32_e64 v1, v1, 63, s[4:5]
	v_and_b32_e32 v3, 31, v1
	v_mul_u32_u24_e32 v3, 0xa2, v3
	v_lshrrev_b32_e32 v1, 5, v1
	v_add_lshl_u32 v3, v3, v0, 1
	v_lshlrev_b32_e32 v4, s0, v5
	v_add_lshl_u32 v3, v3, v1, 1
	ds_read_u16 v1, v3
	v_lshrrev_b32_e32 v4, s8, v4
	v_xor_b32_e32 v4, 63, v4
	v_cndmask_b32_e64 v4, v4, 63, s[4:5]
	v_and_b32_e32 v5, 31, v4
	v_mul_u32_u24_e32 v5, 0xa2, v5
	s_waitcnt lgkmcnt(0)
	v_add_u16_e32 v6, 1, v1
	v_lshrrev_b32_e32 v4, 5, v4
	v_add_lshl_u32 v5, v5, v0, 1
	ds_write_b16 v3, v6
	v_add_lshl_u32 v5, v5, v4, 1
	ds_read_u16 v4, v5
	s_waitcnt lgkmcnt(0)
	v_add_u16_e32 v6, 1, v4
	ds_write_b16 v5, v6
	v_lshlrev_b32_e32 v6, 7, v0
	s_waitcnt lgkmcnt(0)
	s_barrier
	ds_read2_b32 v[8:9], v6 offset1:1
	ds_read2_b32 v[10:11], v6 offset0:2 offset1:3
	ds_read2_b32 v[12:13], v6 offset0:4 offset1:5
	;; [unrolled: 1-line block ×3, first 2 shown]
	s_waitcnt lgkmcnt(3)
	v_add_u32_e32 v7, v9, v8
	s_waitcnt lgkmcnt(2)
	v_add3_u32 v7, v7, v10, v11
	s_waitcnt lgkmcnt(1)
	v_add3_u32 v7, v7, v12, v13
	ds_read2_b32 v[8:9], v6 offset0:8 offset1:9
	ds_read2_b32 v[10:11], v6 offset0:10 offset1:11
	ds_read2_b32 v[12:13], v6 offset0:12 offset1:13
	s_waitcnt lgkmcnt(3)
	v_add3_u32 v7, v7, v14, v15
	ds_read2_b32 v[14:15], v6 offset0:14 offset1:15
	s_waitcnt lgkmcnt(3)
	v_add3_u32 v7, v7, v8, v9
	s_waitcnt lgkmcnt(2)
	v_add3_u32 v7, v7, v10, v11
	;; [unrolled: 2-line block ×3, first 2 shown]
	ds_read2_b32 v[8:9], v6 offset0:16 offset1:17
	ds_read2_b32 v[10:11], v6 offset0:18 offset1:19
	;; [unrolled: 1-line block ×3, first 2 shown]
	s_waitcnt lgkmcnt(3)
	v_add3_u32 v7, v7, v14, v15
	ds_read2_b32 v[14:15], v6 offset0:22 offset1:23
	s_waitcnt lgkmcnt(3)
	v_add3_u32 v7, v7, v8, v9
	s_waitcnt lgkmcnt(2)
	v_add3_u32 v7, v7, v10, v11
	;; [unrolled: 2-line block ×3, first 2 shown]
	ds_read2_b32 v[8:9], v6 offset0:24 offset1:25
	ds_read2_b32 v[10:11], v6 offset0:26 offset1:27
	;; [unrolled: 1-line block ×4, first 2 shown]
	s_waitcnt lgkmcnt(4)
	v_add3_u32 v7, v7, v14, v15
	s_waitcnt lgkmcnt(3)
	v_add3_u32 v7, v7, v8, v9
	;; [unrolled: 2-line block ×5, first 2 shown]
	v_mbcnt_lo_u32_b32 v7, -1, 0
	v_mbcnt_hi_u32_b32 v7, -1, v7
	v_and_b32_e32 v9, 15, v7
	v_mov_b32_dpp v10, v8 row_shr:1 row_mask:0xf bank_mask:0xf
	v_cmp_ne_u32_e32 vcc, 0, v9
	v_cndmask_b32_e32 v10, 0, v10, vcc
	v_add_u32_e32 v8, v10, v8
	v_cmp_lt_u32_e32 vcc, 1, v9
	s_nop 0
	v_mov_b32_dpp v10, v8 row_shr:2 row_mask:0xf bank_mask:0xf
	v_cndmask_b32_e32 v10, 0, v10, vcc
	v_add_u32_e32 v8, v8, v10
	v_cmp_lt_u32_e32 vcc, 3, v9
	s_nop 0
	v_mov_b32_dpp v10, v8 row_shr:4 row_mask:0xf bank_mask:0xf
	;; [unrolled: 5-line block ×3, first 2 shown]
	v_cndmask_b32_e32 v9, 0, v10, vcc
	v_add_u32_e32 v8, v8, v9
	v_bfe_i32 v10, v7, 4, 1
	v_cmp_lt_u32_e32 vcc, 31, v7
	v_mov_b32_dpp v9, v8 row_bcast:15 row_mask:0xf bank_mask:0xf
	v_and_b32_e32 v9, v10, v9
	v_add_u32_e32 v8, v8, v9
	v_and_b32_e32 v10, 0xc0, v0
	v_min_u32_e32 v10, 0x62, v10
	v_mov_b32_dpp v9, v8 row_bcast:31 row_mask:0xf bank_mask:0xf
	v_cndmask_b32_e32 v9, 0, v9, vcc
	v_add_u32_e32 v8, v8, v9
	v_lshrrev_b32_e32 v9, 6, v0
	v_add_u32_e32 v10, 63, v10
	v_cmp_eq_u32_e32 vcc, v10, v0
	v_lshlrev_b32_e32 v9, 2, v9
	s_and_saveexec_b64 s[0:1], vcc
	s_cbranch_execz .LBB2_7
; %bb.6:
	ds_write_b32 v9, v8 offset:20736
.LBB2_7:
	s_or_b64 exec, exec, s[0:1]
	v_cmp_gt_u32_e32 vcc, 3, v0
	s_waitcnt lgkmcnt(0)
	s_barrier
	s_and_saveexec_b64 s[0:1], vcc
	s_cbranch_execz .LBB2_9
; %bb.8:
	v_lshlrev_b32_e32 v10, 2, v0
	ds_read_b32 v11, v10 offset:20736
	v_and_b32_e32 v12, 3, v7
	v_cmp_ne_u32_e32 vcc, 0, v12
	s_waitcnt lgkmcnt(0)
	v_mov_b32_dpp v13, v11 row_shr:1 row_mask:0xf bank_mask:0xf
	v_cndmask_b32_e32 v13, 0, v13, vcc
	v_add_u32_e32 v11, v13, v11
	v_cmp_lt_u32_e32 vcc, 1, v12
	s_nop 0
	v_mov_b32_dpp v13, v11 row_shr:2 row_mask:0xf bank_mask:0xf
	v_cndmask_b32_e32 v12, 0, v13, vcc
	v_add_u32_e32 v11, v11, v12
	ds_write_b32 v10, v11 offset:20736
.LBB2_9:
	s_or_b64 exec, exec, s[0:1]
	v_cmp_lt_u32_e32 vcc, 63, v0
	v_mov_b32_e32 v0, 0
	v_mov_b32_e32 v10, 0
	s_waitcnt lgkmcnt(0)
	s_barrier
	s_and_saveexec_b64 s[0:1], vcc
	s_cbranch_execz .LBB2_11
; %bb.10:
	ds_read_b32 v10, v9 offset:20732
.LBB2_11:
	s_or_b64 exec, exec, s[0:1]
	v_add_u32_e32 v9, -1, v7
	v_and_b32_e32 v11, 64, v7
	v_cmp_lt_i32_e32 vcc, v9, v11
	v_cndmask_b32_e32 v9, v9, v7, vcc
	s_waitcnt lgkmcnt(0)
	v_add_u32_e32 v8, v10, v8
	v_lshlrev_b32_e32 v9, 2, v9
	ds_bpermute_b32 v8, v9, v8
	ds_read_b32 v0, v0 offset:20744
	v_cmp_eq_u32_e32 vcc, 0, v7
	s_add_u32 s0, s2, s6
	s_addc_u32 s1, s3, s7
	s_waitcnt lgkmcnt(1)
	v_cndmask_b32_e32 v7, v8, v10, vcc
	ds_read2_b32 v[8:9], v6 offset1:1
	s_waitcnt lgkmcnt(1)
	v_lshl_add_u32 v0, v0, 16, v7
	ds_read2_b32 v[10:11], v6 offset0:2 offset1:3
	ds_read2_b32 v[12:13], v6 offset0:4 offset1:5
	;; [unrolled: 1-line block ×3, first 2 shown]
	v_lshlrev_b32_e32 v2, 2, v2
	s_waitcnt lgkmcnt(3)
	v_add_u32_e32 v7, v0, v8
	ds_write2_b32 v6, v0, v7 offset1:1
	v_add_u32_e32 v0, v9, v7
	s_waitcnt lgkmcnt(3)
	v_add_u32_e32 v7, v10, v0
	ds_write2_b32 v6, v0, v7 offset0:2 offset1:3
	v_add_u32_e32 v0, v11, v7
	s_waitcnt lgkmcnt(3)
	v_add_u32_e32 v7, v12, v0
	ds_read2_b32 v[8:9], v6 offset0:8 offset1:9
	ds_write2_b32 v6, v0, v7 offset0:4 offset1:5
	v_add_u32_e32 v0, v13, v7
	s_waitcnt lgkmcnt(4)
	v_add_u32_e32 v7, v14, v0
	ds_write2_b32 v6, v0, v7 offset0:6 offset1:7
	v_add_u32_e32 v0, v15, v7
	ds_read2_b32 v[10:11], v6 offset0:10 offset1:11
	ds_read2_b32 v[12:13], v6 offset0:12 offset1:13
	;; [unrolled: 1-line block ×3, first 2 shown]
	s_waitcnt lgkmcnt(5)
	v_add_u32_e32 v7, v8, v0
	ds_write2_b32 v6, v0, v7 offset0:8 offset1:9
	v_add_u32_e32 v0, v9, v7
	s_waitcnt lgkmcnt(3)
	v_add_u32_e32 v7, v10, v0
	ds_write2_b32 v6, v0, v7 offset0:10 offset1:11
	v_add_u32_e32 v0, v11, v7
	s_waitcnt lgkmcnt(3)
	v_add_u32_e32 v7, v12, v0
	ds_read2_b32 v[8:9], v6 offset0:16 offset1:17
	ds_write2_b32 v6, v0, v7 offset0:12 offset1:13
	v_add_u32_e32 v0, v13, v7
	s_waitcnt lgkmcnt(4)
	v_add_u32_e32 v7, v14, v0
	ds_write2_b32 v6, v0, v7 offset0:14 offset1:15
	v_add_u32_e32 v0, v15, v7
	ds_read2_b32 v[10:11], v6 offset0:18 offset1:19
	ds_read2_b32 v[12:13], v6 offset0:20 offset1:21
	;; [unrolled: 1-line block ×3, first 2 shown]
	s_waitcnt lgkmcnt(5)
	v_add_u32_e32 v7, v8, v0
	ds_write2_b32 v6, v0, v7 offset0:16 offset1:17
	v_add_u32_e32 v0, v9, v7
	s_waitcnt lgkmcnt(3)
	v_add_u32_e32 v7, v10, v0
	ds_write2_b32 v6, v0, v7 offset0:18 offset1:19
	v_add_u32_e32 v0, v11, v7
	s_waitcnt lgkmcnt(3)
	v_add_u32_e32 v7, v12, v0
	ds_read2_b32 v[8:9], v6 offset0:24 offset1:25
	ds_write2_b32 v6, v0, v7 offset0:20 offset1:21
	v_add_u32_e32 v0, v13, v7
	s_waitcnt lgkmcnt(4)
	v_add_u32_e32 v7, v14, v0
	ds_write2_b32 v6, v0, v7 offset0:22 offset1:23
	v_add_u32_e32 v0, v15, v7
	ds_read2_b32 v[10:11], v6 offset0:26 offset1:27
	ds_read2_b32 v[12:13], v6 offset0:28 offset1:29
	ds_read_b32 v7, v6 offset:120
	s_waitcnt lgkmcnt(5)
	v_add_u32_e32 v8, v8, v0
	ds_write2_b32 v6, v0, v8 offset0:24 offset1:25
	v_add_u32_e32 v0, v9, v8
	s_waitcnt lgkmcnt(3)
	v_add_u32_e32 v8, v10, v0
	ds_write2_b32 v6, v0, v8 offset0:26 offset1:27
	v_add_u32_e32 v0, v11, v8
	s_waitcnt lgkmcnt(3)
	v_add_u32_e32 v8, v12, v0
	ds_write2_b32 v6, v0, v8 offset0:28 offset1:29
	v_add_u32_e32 v0, v13, v8
	s_waitcnt lgkmcnt(3)
	v_add_u32_e32 v7, v7, v0
	ds_write2_b32 v6, v0, v7 offset0:30 offset1:31
	s_waitcnt lgkmcnt(0)
	s_barrier
	ds_read_u16 v0, v3
	ds_read_u16 v3, v5
	s_waitcnt lgkmcnt(1)
	v_add_u32_sdwa v0, v0, v1 dst_sel:DWORD dst_unused:UNUSED_PAD src0_sel:DWORD src1_sel:WORD_0
	s_waitcnt lgkmcnt(0)
	v_add_u32_sdwa v1, v3, v4 dst_sel:DWORD dst_unused:UNUSED_PAD src0_sel:DWORD src1_sel:WORD_0
	global_store_dwordx2 v2, v[0:1], s[0:1]
	s_endpgm
	.section	.rodata,"a",@progbits
	.p2align	6, 0x0
	.amdhsa_kernel _Z11rank_kernelILj162ELj2ELj6ELb1EL18RadixRankAlgorithm0EjEvPKT4_Pijj
		.amdhsa_group_segment_fixed_size 20752
		.amdhsa_private_segment_fixed_size 0
		.amdhsa_kernarg_size 24
		.amdhsa_user_sgpr_count 6
		.amdhsa_user_sgpr_private_segment_buffer 1
		.amdhsa_user_sgpr_dispatch_ptr 0
		.amdhsa_user_sgpr_queue_ptr 0
		.amdhsa_user_sgpr_kernarg_segment_ptr 1
		.amdhsa_user_sgpr_dispatch_id 0
		.amdhsa_user_sgpr_flat_scratch_init 0
		.amdhsa_user_sgpr_kernarg_preload_length 0
		.amdhsa_user_sgpr_kernarg_preload_offset 0
		.amdhsa_user_sgpr_private_segment_size 0
		.amdhsa_uses_dynamic_stack 0
		.amdhsa_system_sgpr_private_segment_wavefront_offset 0
		.amdhsa_system_sgpr_workgroup_id_x 1
		.amdhsa_system_sgpr_workgroup_id_y 0
		.amdhsa_system_sgpr_workgroup_id_z 0
		.amdhsa_system_sgpr_workgroup_info 0
		.amdhsa_system_vgpr_workitem_id 0
		.amdhsa_next_free_vgpr 18
		.amdhsa_next_free_sgpr 11
		.amdhsa_accum_offset 20
		.amdhsa_reserve_vcc 1
		.amdhsa_reserve_flat_scratch 0
		.amdhsa_float_round_mode_32 0
		.amdhsa_float_round_mode_16_64 0
		.amdhsa_float_denorm_mode_32 3
		.amdhsa_float_denorm_mode_16_64 3
		.amdhsa_dx10_clamp 1
		.amdhsa_ieee_mode 1
		.amdhsa_fp16_overflow 0
		.amdhsa_tg_split 0
		.amdhsa_exception_fp_ieee_invalid_op 0
		.amdhsa_exception_fp_denorm_src 0
		.amdhsa_exception_fp_ieee_div_zero 0
		.amdhsa_exception_fp_ieee_overflow 0
		.amdhsa_exception_fp_ieee_underflow 0
		.amdhsa_exception_fp_ieee_inexact 0
		.amdhsa_exception_int_div_zero 0
	.end_amdhsa_kernel
	.section	.text._Z11rank_kernelILj162ELj2ELj6ELb1EL18RadixRankAlgorithm0EjEvPKT4_Pijj,"axG",@progbits,_Z11rank_kernelILj162ELj2ELj6ELb1EL18RadixRankAlgorithm0EjEvPKT4_Pijj,comdat
.Lfunc_end2:
	.size	_Z11rank_kernelILj162ELj2ELj6ELb1EL18RadixRankAlgorithm0EjEvPKT4_Pijj, .Lfunc_end2-_Z11rank_kernelILj162ELj2ELj6ELb1EL18RadixRankAlgorithm0EjEvPKT4_Pijj
                                        ; -- End function
	.section	.AMDGPU.csdata,"",@progbits
; Kernel info:
; codeLenInByte = 1732
; NumSgprs: 15
; NumVgprs: 18
; NumAgprs: 0
; TotalNumVgprs: 18
; ScratchSize: 0
; MemoryBound: 0
; FloatMode: 240
; IeeeMode: 1
; LDSByteSize: 20752 bytes/workgroup (compile time only)
; SGPRBlocks: 1
; VGPRBlocks: 2
; NumSGPRsForWavesPerEU: 15
; NumVGPRsForWavesPerEU: 18
; AccumOffset: 20
; Occupancy: 3
; WaveLimiterHint : 0
; COMPUTE_PGM_RSRC2:SCRATCH_EN: 0
; COMPUTE_PGM_RSRC2:USER_SGPR: 6
; COMPUTE_PGM_RSRC2:TRAP_HANDLER: 0
; COMPUTE_PGM_RSRC2:TGID_X_EN: 1
; COMPUTE_PGM_RSRC2:TGID_Y_EN: 0
; COMPUTE_PGM_RSRC2:TGID_Z_EN: 0
; COMPUTE_PGM_RSRC2:TIDIG_COMP_CNT: 0
; COMPUTE_PGM_RSRC3_GFX90A:ACCUM_OFFSET: 4
; COMPUTE_PGM_RSRC3_GFX90A:TG_SPLIT: 0
	.section	.text._Z11rank_kernelILj60ELj1ELj3ELb1EL18RadixRankAlgorithm0EfEvPKT4_Pijj,"axG",@progbits,_Z11rank_kernelILj60ELj1ELj3ELb1EL18RadixRankAlgorithm0EfEvPKT4_Pijj,comdat
	.protected	_Z11rank_kernelILj60ELj1ELj3ELb1EL18RadixRankAlgorithm0EfEvPKT4_Pijj ; -- Begin function _Z11rank_kernelILj60ELj1ELj3ELb1EL18RadixRankAlgorithm0EfEvPKT4_Pijj
	.globl	_Z11rank_kernelILj60ELj1ELj3ELb1EL18RadixRankAlgorithm0EfEvPKT4_Pijj
	.p2align	8
	.type	_Z11rank_kernelILj60ELj1ELj3ELb1EL18RadixRankAlgorithm0EfEvPKT4_Pijj,@function
_Z11rank_kernelILj60ELj1ELj3ELb1EL18RadixRankAlgorithm0EfEvPKT4_Pijj: ; @_Z11rank_kernelILj60ELj1ELj3ELb1EL18RadixRankAlgorithm0EfEvPKT4_Pijj
; %bb.0:
	s_load_dwordx4 s[0:3], s[4:5], 0x0
	s_mul_i32 s8, s6, 60
	s_mov_b32 s9, 0
	s_lshl_b64 s[6:7], s[8:9], 2
	v_lshlrev_b32_e32 v6, 2, v0
	s_waitcnt lgkmcnt(0)
	s_add_u32 s0, s0, s6
	s_addc_u32 s1, s1, s7
	global_load_dword v7, v6, s[0:1]
	s_movk_i32 s0, 0xf0
	v_cmp_gt_u32_e32 vcc, s0, v0
	s_and_saveexec_b64 s[10:11], vcc
	s_cbranch_execz .LBB3_7
; %bb.1:
	s_movk_i32 s0, 0xb4
	v_mov_b32_e32 v1, 0xb4
	v_cmp_gt_u32_e32 vcc, s0, v0
	v_subb_co_u32_e64 v1, s[0:1], v1, v0, vcc
	s_mov_b32 s0, 0x88888889
	v_mul_hi_u32 v1, v1, s0
	v_lshrrev_b32_e32 v1, 5, v1
	v_addc_co_u32_e64 v2, s[0:1], 0, v1, vcc
	v_addc_co_u32_e32 v1, vcc, 2, v1, vcc
	v_and_b32_e32 v8, 14, v1
	v_add_u32_e32 v1, 60, v0
	v_mov_b32_e32 v3, v2
	s_mov_b64 s[12:13], 0
	v_mov_b32_e32 v9, 0
	v_pk_mov_b32 v[4:5], v[0:1], v[0:1] op_sel:[0,1]
	s_branch .LBB3_3
.LBB3_2:                                ;   in Loop: Header=BB3_3 Depth=1
	s_or_b64 exec, exec, s[0:1]
	s_add_i32 s9, s9, 2
	v_cmp_eq_u32_e32 vcc, s9, v8
	v_add_u32_e32 v5, 0x78, v5
	s_or_b64 s[12:13], vcc, s[12:13]
	v_add_u32_e32 v4, 0x78, v4
	s_andn2_b64 exec, exec, s[12:13]
	s_cbranch_execz .LBB3_7
.LBB3_3:                                ; =>This Inner Loop Header: Depth=1
	s_or_b32 s0, s9, 1
	v_cmp_le_u32_e32 vcc, s0, v3
	v_cmp_le_u32_e64 s[0:1], s9, v2
	s_and_saveexec_b64 s[14:15], s[0:1]
	s_cbranch_execz .LBB3_5
; %bb.4:                                ;   in Loop: Header=BB3_3 Depth=1
	v_lshlrev_b32_e32 v1, 2, v4
	ds_write_b32 v1, v9
.LBB3_5:                                ;   in Loop: Header=BB3_3 Depth=1
	s_or_b64 exec, exec, s[14:15]
	s_and_saveexec_b64 s[0:1], vcc
	s_cbranch_execz .LBB3_2
; %bb.6:                                ;   in Loop: Header=BB3_3 Depth=1
	v_lshlrev_b32_e32 v1, 2, v5
	ds_write_b32 v1, v9
	s_branch .LBB3_2
.LBB3_7:
	s_or_b64 exec, exec, s[10:11]
	s_load_dwordx2 s[0:1], s[4:5], 0x10
	v_bfrev_b32_e32 v1, 1
	s_waitcnt vmcnt(0)
	v_cmp_lt_i32_e32 vcc, -1, v7
	v_cndmask_b32_e32 v2, -1, v1, vcc
	v_xor_b32_e32 v2, v2, v7
	s_brev_b32 s4, -2
	s_waitcnt lgkmcnt(0)
	s_and_b32 s1, s1, 31
	s_and_b32 s0, s0, 31
	v_cmp_ne_u32_e32 vcc, s4, v2
	s_add_i32 s0, s0, s1
	v_cndmask_b32_e32 v1, v1, v2, vcc
	s_sub_i32 s0, 32, s0
	v_lshlrev_b32_e32 v1, s0, v1
	s_sub_i32 s0, 32, s1
	v_lshrrev_b32_e32 v1, s0, v1
	s_cmp_lg_u32 s1, 0
	v_xor_b32_e32 v1, 7, v1
	s_cselect_b64 vcc, -1, 0
	v_cndmask_b32_e32 v1, 7, v1, vcc
	v_and_b32_e32 v2, 3, v1
	v_mul_u32_u24_e32 v2, 60, v2
	v_lshrrev_b32_e32 v1, 2, v1
	v_add_lshl_u32 v2, v2, v0, 1
	v_add_lshl_u32 v1, v2, v1, 1
	ds_read_u16 v2, v1
	s_waitcnt lgkmcnt(0)
	v_add_u16_e32 v3, 1, v2
	ds_write_b16 v1, v3
	v_lshlrev_b32_e32 v3, 4, v0
	s_waitcnt lgkmcnt(0)
	; wave barrier
	s_waitcnt lgkmcnt(0)
	ds_read2_b32 v[4:5], v3 offset1:1
	ds_read2_b32 v[8:9], v3 offset0:2 offset1:3
	s_waitcnt lgkmcnt(1)
	v_add_u32_e32 v4, v5, v4
	s_waitcnt lgkmcnt(0)
	v_add3_u32 v5, v4, v8, v9
	v_mbcnt_lo_u32_b32 v4, -1, 0
	v_mbcnt_hi_u32_b32 v4, -1, v4
	v_and_b32_e32 v7, 15, v4
	v_mov_b32_dpp v8, v5 row_shr:1 row_mask:0xf bank_mask:0xf
	v_cmp_ne_u32_e32 vcc, 0, v7
	v_cndmask_b32_e32 v8, 0, v8, vcc
	v_add_u32_e32 v5, v8, v5
	v_cmp_lt_u32_e32 vcc, 1, v7
	s_nop 0
	v_mov_b32_dpp v8, v5 row_shr:2 row_mask:0xf bank_mask:0xf
	v_cndmask_b32_e32 v8, 0, v8, vcc
	v_add_u32_e32 v5, v5, v8
	v_cmp_lt_u32_e32 vcc, 3, v7
	s_nop 0
	v_mov_b32_dpp v8, v5 row_shr:4 row_mask:0xf bank_mask:0xf
	;; [unrolled: 5-line block ×3, first 2 shown]
	v_cndmask_b32_e32 v7, 0, v8, vcc
	v_add_u32_e32 v5, v5, v7
	v_bfe_i32 v8, v4, 4, 1
	v_cmp_lt_u32_e32 vcc, 31, v4
	v_mov_b32_dpp v7, v5 row_bcast:15 row_mask:0xf bank_mask:0xf
	v_and_b32_e32 v7, v8, v7
	v_add_u32_e32 v5, v5, v7
	s_nop 1
	v_mov_b32_dpp v7, v5 row_bcast:31 row_mask:0xf bank_mask:0xf
	v_cndmask_b32_e32 v7, 0, v7, vcc
	v_add_u32_e32 v5, v5, v7
	v_cmp_eq_u32_e32 vcc, 59, v0
	s_and_saveexec_b64 s[0:1], vcc
	s_cbranch_execz .LBB3_9
; %bb.8:
	v_mov_b32_e32 v0, 0
	ds_write_b32 v0, v5 offset:960
.LBB3_9:
	s_or_b64 exec, exec, s[0:1]
	v_add_u32_e32 v0, -1, v4
	v_and_b32_e32 v7, 64, v4
	v_cmp_lt_i32_e32 vcc, v0, v7
	v_cndmask_b32_e32 v0, v0, v4, vcc
	v_lshlrev_b32_e32 v0, 2, v0
	ds_bpermute_b32 v0, v0, v5
	v_mov_b32_e32 v5, 0
	s_waitcnt lgkmcnt(0)
	; wave barrier
	s_waitcnt lgkmcnt(0)
	ds_read_b32 v5, v5 offset:960
	ds_read2_b32 v[8:9], v3 offset1:1
	v_cmp_ne_u32_e32 vcc, 0, v4
	ds_read_b32 v4, v3 offset:8
	v_cndmask_b32_e32 v0, 0, v0, vcc
	s_waitcnt lgkmcnt(2)
	v_lshl_add_u32 v0, v5, 16, v0
	s_waitcnt lgkmcnt(1)
	v_add_u32_e32 v5, v0, v8
	ds_write2_b32 v3, v0, v5 offset1:1
	v_add_u32_e32 v0, v9, v5
	s_waitcnt lgkmcnt(1)
	v_add_u32_e32 v4, v4, v0
	ds_write2_b32 v3, v0, v4 offset0:2 offset1:3
	s_waitcnt lgkmcnt(0)
	; wave barrier
	s_waitcnt lgkmcnt(0)
	ds_read_u16 v0, v1
	s_add_u32 s0, s2, s6
	s_addc_u32 s1, s3, s7
	s_waitcnt lgkmcnt(0)
	v_add_u32_sdwa v0, v0, v2 dst_sel:DWORD dst_unused:UNUSED_PAD src0_sel:DWORD src1_sel:WORD_0
	global_store_dword v6, v0, s[0:1]
	s_endpgm
	.section	.rodata,"a",@progbits
	.p2align	6, 0x0
	.amdhsa_kernel _Z11rank_kernelILj60ELj1ELj3ELb1EL18RadixRankAlgorithm0EfEvPKT4_Pijj
		.amdhsa_group_segment_fixed_size 976
		.amdhsa_private_segment_fixed_size 0
		.amdhsa_kernarg_size 24
		.amdhsa_user_sgpr_count 6
		.amdhsa_user_sgpr_private_segment_buffer 1
		.amdhsa_user_sgpr_dispatch_ptr 0
		.amdhsa_user_sgpr_queue_ptr 0
		.amdhsa_user_sgpr_kernarg_segment_ptr 1
		.amdhsa_user_sgpr_dispatch_id 0
		.amdhsa_user_sgpr_flat_scratch_init 0
		.amdhsa_user_sgpr_kernarg_preload_length 0
		.amdhsa_user_sgpr_kernarg_preload_offset 0
		.amdhsa_user_sgpr_private_segment_size 0
		.amdhsa_uses_dynamic_stack 0
		.amdhsa_system_sgpr_private_segment_wavefront_offset 0
		.amdhsa_system_sgpr_workgroup_id_x 1
		.amdhsa_system_sgpr_workgroup_id_y 0
		.amdhsa_system_sgpr_workgroup_id_z 0
		.amdhsa_system_sgpr_workgroup_info 0
		.amdhsa_system_vgpr_workitem_id 0
		.amdhsa_next_free_vgpr 10
		.amdhsa_next_free_sgpr 16
		.amdhsa_accum_offset 12
		.amdhsa_reserve_vcc 1
		.amdhsa_reserve_flat_scratch 0
		.amdhsa_float_round_mode_32 0
		.amdhsa_float_round_mode_16_64 0
		.amdhsa_float_denorm_mode_32 3
		.amdhsa_float_denorm_mode_16_64 3
		.amdhsa_dx10_clamp 1
		.amdhsa_ieee_mode 1
		.amdhsa_fp16_overflow 0
		.amdhsa_tg_split 0
		.amdhsa_exception_fp_ieee_invalid_op 0
		.amdhsa_exception_fp_denorm_src 0
		.amdhsa_exception_fp_ieee_div_zero 0
		.amdhsa_exception_fp_ieee_overflow 0
		.amdhsa_exception_fp_ieee_underflow 0
		.amdhsa_exception_fp_ieee_inexact 0
		.amdhsa_exception_int_div_zero 0
	.end_amdhsa_kernel
	.section	.text._Z11rank_kernelILj60ELj1ELj3ELb1EL18RadixRankAlgorithm0EfEvPKT4_Pijj,"axG",@progbits,_Z11rank_kernelILj60ELj1ELj3ELb1EL18RadixRankAlgorithm0EfEvPKT4_Pijj,comdat
.Lfunc_end3:
	.size	_Z11rank_kernelILj60ELj1ELj3ELb1EL18RadixRankAlgorithm0EfEvPKT4_Pijj, .Lfunc_end3-_Z11rank_kernelILj60ELj1ELj3ELb1EL18RadixRankAlgorithm0EfEvPKT4_Pijj
                                        ; -- End function
	.section	.AMDGPU.csdata,"",@progbits
; Kernel info:
; codeLenInByte = 800
; NumSgprs: 20
; NumVgprs: 10
; NumAgprs: 0
; TotalNumVgprs: 10
; ScratchSize: 0
; MemoryBound: 0
; FloatMode: 240
; IeeeMode: 1
; LDSByteSize: 976 bytes/workgroup (compile time only)
; SGPRBlocks: 2
; VGPRBlocks: 1
; NumSGPRsForWavesPerEU: 20
; NumVGPRsForWavesPerEU: 10
; AccumOffset: 12
; Occupancy: 8
; WaveLimiterHint : 0
; COMPUTE_PGM_RSRC2:SCRATCH_EN: 0
; COMPUTE_PGM_RSRC2:USER_SGPR: 6
; COMPUTE_PGM_RSRC2:TRAP_HANDLER: 0
; COMPUTE_PGM_RSRC2:TGID_X_EN: 1
; COMPUTE_PGM_RSRC2:TGID_Y_EN: 0
; COMPUTE_PGM_RSRC2:TGID_Z_EN: 0
; COMPUTE_PGM_RSRC2:TIDIG_COMP_CNT: 0
; COMPUTE_PGM_RSRC3_GFX90A:ACCUM_OFFSET: 2
; COMPUTE_PGM_RSRC3_GFX90A:TG_SPLIT: 0
	.section	.text._Z11rank_kernelILj102ELj3ELj3ELb1EL18RadixRankAlgorithm0EtEvPKT4_Pijj,"axG",@progbits,_Z11rank_kernelILj102ELj3ELj3ELb1EL18RadixRankAlgorithm0EtEvPKT4_Pijj,comdat
	.protected	_Z11rank_kernelILj102ELj3ELj3ELb1EL18RadixRankAlgorithm0EtEvPKT4_Pijj ; -- Begin function _Z11rank_kernelILj102ELj3ELj3ELb1EL18RadixRankAlgorithm0EtEvPKT4_Pijj
	.globl	_Z11rank_kernelILj102ELj3ELj3ELb1EL18RadixRankAlgorithm0EtEvPKT4_Pijj
	.p2align	8
	.type	_Z11rank_kernelILj102ELj3ELj3ELb1EL18RadixRankAlgorithm0EtEvPKT4_Pijj,@function
_Z11rank_kernelILj102ELj3ELj3ELb1EL18RadixRankAlgorithm0EtEvPKT4_Pijj: ; @_Z11rank_kernelILj102ELj3ELj3ELb1EL18RadixRankAlgorithm0EtEvPKT4_Pijj
; %bb.0:
	s_load_dwordx4 s[0:3], s[4:5], 0x0
	s_mulk_i32 s6, 0x132
	s_mov_b32 s7, 0
	s_lshl_b64 s[8:9], s[6:7], 1
	v_mul_u32_u24_e32 v6, 3, v0
	s_waitcnt lgkmcnt(0)
	s_add_u32 s0, s0, s8
	s_addc_u32 s1, s1, s9
	v_lshlrev_b32_e32 v1, 1, v6
	global_load_dword v8, v1, s[0:1]
	global_load_ushort v7, v1, s[0:1] offset:4
	s_movk_i32 s1, 0x198
	s_movk_i32 s0, 0x132
	v_cmp_gt_u32_e32 vcc, s1, v0
	s_and_saveexec_b64 s[8:9], vcc
	s_cbranch_execz .LBB4_7
; %bb.1:
	v_mov_b32_e32 v1, 0x132
	v_cmp_gt_u32_e32 vcc, s0, v0
	v_subb_co_u32_e64 v1, s[0:1], v1, v0, vcc
	s_mov_b32 s0, 0xa0a0a0a1
	v_mul_hi_u32 v1, v1, s0
	v_lshrrev_b32_e32 v1, 6, v1
	v_addc_co_u32_e64 v2, s[0:1], 0, v1, vcc
	v_addc_co_u32_e32 v1, vcc, 2, v1, vcc
	v_and_b32_e32 v9, 14, v1
	v_add_u32_e32 v1, 0x66, v0
	v_mov_b32_e32 v3, v2
	s_mov_b64 s[10:11], 0
	v_mov_b32_e32 v10, 0
	s_mov_b32 s14, s7
	v_pk_mov_b32 v[4:5], v[0:1], v[0:1] op_sel:[0,1]
	s_branch .LBB4_3
.LBB4_2:                                ;   in Loop: Header=BB4_3 Depth=1
	s_or_b64 exec, exec, s[0:1]
	s_add_i32 s14, s14, 2
	v_cmp_eq_u32_e32 vcc, s14, v9
	v_add_u32_e32 v5, 0xcc, v5
	s_or_b64 s[10:11], vcc, s[10:11]
	v_add_u32_e32 v4, 0xcc, v4
	s_andn2_b64 exec, exec, s[10:11]
	s_cbranch_execz .LBB4_7
.LBB4_3:                                ; =>This Inner Loop Header: Depth=1
	s_or_b32 s0, s14, 1
	v_cmp_le_u32_e32 vcc, s0, v3
	v_cmp_le_u32_e64 s[0:1], s14, v2
	s_and_saveexec_b64 s[12:13], s[0:1]
	s_cbranch_execz .LBB4_5
; %bb.4:                                ;   in Loop: Header=BB4_3 Depth=1
	v_lshlrev_b32_e32 v1, 2, v4
	ds_write_b32 v1, v10
.LBB4_5:                                ;   in Loop: Header=BB4_3 Depth=1
	s_or_b64 exec, exec, s[12:13]
	s_and_saveexec_b64 s[0:1], vcc
	s_cbranch_execz .LBB4_2
; %bb.6:                                ;   in Loop: Header=BB4_3 Depth=1
	v_lshlrev_b32_e32 v1, 2, v5
	ds_write_b32 v1, v10
	s_branch .LBB4_2
.LBB4_7:
	s_or_b64 exec, exec, s[8:9]
	s_load_dwordx2 s[0:1], s[4:5], 0x10
	s_waitcnt lgkmcnt(0)
	s_and_b32 s1, s1, 31
	s_cmp_eq_u32 s1, 0
	s_cselect_b64 s[4:5], -1, 0
	s_and_b32 s0, s0, 31
	s_add_i32 s0, s0, s1
	s_sub_i32 s0, 32, s0
	s_sub_i32 s8, 32, s1
	s_waitcnt vmcnt(1)
	v_lshlrev_b32_sdwa v1, s0, v8 dst_sel:DWORD dst_unused:UNUSED_PAD src0_sel:DWORD src1_sel:WORD_0
	v_bfe_u32 v1, v1, s8, 16
	v_xor_b32_e32 v1, 7, v1
	v_cndmask_b32_e64 v1, v1, 7, s[4:5]
	v_and_b32_e32 v2, 3, v1
	v_mul_u32_u24_e32 v2, 0x66, v2
	v_lshrrev_b32_e32 v1, 2, v1
	v_add_lshl_u32 v2, v2, v0, 1
	v_lshlrev_b32_sdwa v3, s0, v8 dst_sel:DWORD dst_unused:UNUSED_PAD src0_sel:DWORD src1_sel:WORD_1
	v_add_lshl_u32 v2, v2, v1, 1
	ds_read_u16 v1, v2
	v_bfe_u32 v3, v3, s8, 16
	v_xor_b32_e32 v3, 7, v3
	v_cndmask_b32_e64 v3, v3, 7, s[4:5]
	v_and_b32_e32 v4, 3, v3
	v_mul_u32_u24_e32 v4, 0x66, v4
	s_waitcnt lgkmcnt(0)
	v_add_u16_e32 v5, 1, v1
	v_lshrrev_b32_e32 v3, 2, v3
	v_add_lshl_u32 v4, v4, v0, 1
	ds_write_b16 v2, v5
	v_add_lshl_u32 v4, v4, v3, 1
	ds_read_u16 v3, v4
	s_waitcnt lgkmcnt(0)
	v_add_u16_e32 v5, 1, v3
	ds_write_b16 v4, v5
	s_waitcnt vmcnt(0)
	v_lshlrev_b32_sdwa v5, s0, v7 dst_sel:DWORD dst_unused:UNUSED_PAD src0_sel:DWORD src1_sel:WORD_0
	v_bfe_u32 v5, v5, s8, 16
	v_xor_b32_e32 v5, 7, v5
	v_cndmask_b32_e64 v5, v5, 7, s[4:5]
	v_and_b32_e32 v7, 3, v5
	v_mul_u32_u24_e32 v7, 0x66, v7
	v_lshrrev_b32_e32 v5, 2, v5
	v_add_lshl_u32 v7, v7, v0, 1
	v_add_lshl_u32 v7, v7, v5, 1
	ds_read_u16 v5, v7
	s_waitcnt lgkmcnt(0)
	v_add_u16_e32 v8, 1, v5
	ds_write_b16 v7, v8
	v_lshlrev_b32_e32 v8, 4, v0
	s_waitcnt lgkmcnt(0)
	s_barrier
	ds_read2_b32 v[10:11], v8 offset1:1
	ds_read2_b32 v[12:13], v8 offset0:2 offset1:3
	s_waitcnt lgkmcnt(1)
	v_add_u32_e32 v9, v11, v10
	s_waitcnt lgkmcnt(0)
	v_add3_u32 v10, v9, v12, v13
	v_mbcnt_lo_u32_b32 v9, -1, 0
	v_mbcnt_hi_u32_b32 v9, -1, v9
	v_and_b32_e32 v11, 15, v9
	v_mov_b32_dpp v12, v10 row_shr:1 row_mask:0xf bank_mask:0xf
	v_cmp_ne_u32_e32 vcc, 0, v11
	v_cndmask_b32_e32 v12, 0, v12, vcc
	v_add_u32_e32 v10, v12, v10
	v_cmp_lt_u32_e32 vcc, 1, v11
	s_nop 0
	v_mov_b32_dpp v12, v10 row_shr:2 row_mask:0xf bank_mask:0xf
	v_cndmask_b32_e32 v12, 0, v12, vcc
	v_add_u32_e32 v10, v10, v12
	v_cmp_lt_u32_e32 vcc, 3, v11
	s_nop 0
	v_mov_b32_dpp v12, v10 row_shr:4 row_mask:0xf bank_mask:0xf
	;; [unrolled: 5-line block ×3, first 2 shown]
	v_cndmask_b32_e32 v11, 0, v12, vcc
	v_add_u32_e32 v10, v10, v11
	v_bfe_i32 v12, v9, 4, 1
	v_cmp_lt_u32_e32 vcc, 31, v9
	v_mov_b32_dpp v11, v10 row_bcast:15 row_mask:0xf bank_mask:0xf
	v_and_b32_e32 v11, v12, v11
	v_add_u32_e32 v10, v10, v11
	v_and_b32_e32 v12, 64, v0
	v_min_u32_e32 v12, 38, v12
	v_mov_b32_dpp v11, v10 row_bcast:31 row_mask:0xf bank_mask:0xf
	v_cndmask_b32_e32 v11, 0, v11, vcc
	v_add_u32_e32 v10, v10, v11
	v_lshrrev_b32_e32 v11, 6, v0
	v_add_u32_e32 v12, 63, v12
	v_cmp_eq_u32_e32 vcc, v12, v0
	v_lshlrev_b32_e32 v11, 2, v11
	s_and_saveexec_b64 s[0:1], vcc
	s_cbranch_execz .LBB4_9
; %bb.8:
	ds_write_b32 v11, v10 offset:1632
.LBB4_9:
	s_or_b64 exec, exec, s[0:1]
	v_cmp_gt_u32_e32 vcc, 2, v0
	s_waitcnt lgkmcnt(0)
	s_barrier
	s_and_saveexec_b64 s[0:1], vcc
	s_cbranch_execz .LBB4_11
; %bb.10:
	v_lshlrev_b32_e32 v12, 2, v0
	ds_read_b32 v13, v12 offset:1632
	v_bfe_i32 v14, v9, 0, 1
	s_waitcnt lgkmcnt(0)
	v_mov_b32_dpp v15, v13 row_shr:1 row_mask:0xf bank_mask:0xf
	v_and_b32_e32 v14, v14, v15
	v_add_u32_e32 v13, v14, v13
	ds_write_b32 v12, v13 offset:1632
.LBB4_11:
	s_or_b64 exec, exec, s[0:1]
	v_cmp_lt_u32_e32 vcc, 63, v0
	v_mov_b32_e32 v12, 0
	v_mov_b32_e32 v0, 0
	s_waitcnt lgkmcnt(0)
	s_barrier
	s_and_saveexec_b64 s[0:1], vcc
	s_cbranch_execz .LBB4_13
; %bb.12:
	ds_read_b32 v0, v11 offset:1628
.LBB4_13:
	s_or_b64 exec, exec, s[0:1]
	v_add_u32_e32 v11, -1, v9
	v_and_b32_e32 v13, 64, v9
	v_cmp_lt_i32_e32 vcc, v11, v13
	v_cndmask_b32_e32 v11, v11, v9, vcc
	s_waitcnt lgkmcnt(0)
	v_add_u32_e32 v10, v0, v10
	v_lshlrev_b32_e32 v11, 2, v11
	ds_bpermute_b32 v13, v11, v10
	ds_read_b32 v12, v12 offset:1636
	ds_read2_b32 v[10:11], v8 offset1:1
	v_cmp_eq_u32_e32 vcc, 0, v9
	ds_read_b32 v9, v8 offset:8
	s_lshl_b64 s[0:1], s[6:7], 2
	s_waitcnt lgkmcnt(3)
	v_cndmask_b32_e32 v0, v13, v0, vcc
	s_waitcnt lgkmcnt(2)
	v_lshl_add_u32 v0, v12, 16, v0
	s_waitcnt lgkmcnt(1)
	v_add_u32_e32 v10, v0, v10
	ds_write2_b32 v8, v0, v10 offset1:1
	v_add_u32_e32 v0, v11, v10
	s_waitcnt lgkmcnt(1)
	v_add_u32_e32 v9, v9, v0
	ds_write2_b32 v8, v0, v9 offset0:2 offset1:3
	s_waitcnt lgkmcnt(0)
	s_barrier
	ds_read_u16 v0, v2
	ds_read_u16 v2, v4
	;; [unrolled: 1-line block ×3, first 2 shown]
	s_add_u32 s0, s2, s0
	s_addc_u32 s1, s3, s1
	s_waitcnt lgkmcnt(2)
	v_add_u32_sdwa v0, v0, v1 dst_sel:DWORD dst_unused:UNUSED_PAD src0_sel:DWORD src1_sel:WORD_0
	s_waitcnt lgkmcnt(1)
	v_add_u32_sdwa v1, v2, v3 dst_sel:DWORD dst_unused:UNUSED_PAD src0_sel:DWORD src1_sel:WORD_0
	;; [unrolled: 2-line block ×3, first 2 shown]
	v_lshlrev_b32_e32 v3, 2, v6
	global_store_dwordx3 v3, v[0:2], s[0:1]
	s_endpgm
	.section	.rodata,"a",@progbits
	.p2align	6, 0x0
	.amdhsa_kernel _Z11rank_kernelILj102ELj3ELj3ELb1EL18RadixRankAlgorithm0EtEvPKT4_Pijj
		.amdhsa_group_segment_fixed_size 1648
		.amdhsa_private_segment_fixed_size 0
		.amdhsa_kernarg_size 24
		.amdhsa_user_sgpr_count 6
		.amdhsa_user_sgpr_private_segment_buffer 1
		.amdhsa_user_sgpr_dispatch_ptr 0
		.amdhsa_user_sgpr_queue_ptr 0
		.amdhsa_user_sgpr_kernarg_segment_ptr 1
		.amdhsa_user_sgpr_dispatch_id 0
		.amdhsa_user_sgpr_flat_scratch_init 0
		.amdhsa_user_sgpr_kernarg_preload_length 0
		.amdhsa_user_sgpr_kernarg_preload_offset 0
		.amdhsa_user_sgpr_private_segment_size 0
		.amdhsa_uses_dynamic_stack 0
		.amdhsa_system_sgpr_private_segment_wavefront_offset 0
		.amdhsa_system_sgpr_workgroup_id_x 1
		.amdhsa_system_sgpr_workgroup_id_y 0
		.amdhsa_system_sgpr_workgroup_id_z 0
		.amdhsa_system_sgpr_workgroup_info 0
		.amdhsa_system_vgpr_workitem_id 0
		.amdhsa_next_free_vgpr 16
		.amdhsa_next_free_sgpr 15
		.amdhsa_accum_offset 16
		.amdhsa_reserve_vcc 1
		.amdhsa_reserve_flat_scratch 0
		.amdhsa_float_round_mode_32 0
		.amdhsa_float_round_mode_16_64 0
		.amdhsa_float_denorm_mode_32 3
		.amdhsa_float_denorm_mode_16_64 3
		.amdhsa_dx10_clamp 1
		.amdhsa_ieee_mode 1
		.amdhsa_fp16_overflow 0
		.amdhsa_tg_split 0
		.amdhsa_exception_fp_ieee_invalid_op 0
		.amdhsa_exception_fp_denorm_src 0
		.amdhsa_exception_fp_ieee_div_zero 0
		.amdhsa_exception_fp_ieee_overflow 0
		.amdhsa_exception_fp_ieee_underflow 0
		.amdhsa_exception_fp_ieee_inexact 0
		.amdhsa_exception_int_div_zero 0
	.end_amdhsa_kernel
	.section	.text._Z11rank_kernelILj102ELj3ELj3ELb1EL18RadixRankAlgorithm0EtEvPKT4_Pijj,"axG",@progbits,_Z11rank_kernelILj102ELj3ELj3ELb1EL18RadixRankAlgorithm0EtEvPKT4_Pijj,comdat
.Lfunc_end4:
	.size	_Z11rank_kernelILj102ELj3ELj3ELb1EL18RadixRankAlgorithm0EtEvPKT4_Pijj, .Lfunc_end4-_Z11rank_kernelILj102ELj3ELj3ELb1EL18RadixRankAlgorithm0EtEvPKT4_Pijj
                                        ; -- End function
	.section	.AMDGPU.csdata,"",@progbits
; Kernel info:
; codeLenInByte = 1152
; NumSgprs: 19
; NumVgprs: 16
; NumAgprs: 0
; TotalNumVgprs: 16
; ScratchSize: 0
; MemoryBound: 0
; FloatMode: 240
; IeeeMode: 1
; LDSByteSize: 1648 bytes/workgroup (compile time only)
; SGPRBlocks: 2
; VGPRBlocks: 1
; NumSGPRsForWavesPerEU: 19
; NumVGPRsForWavesPerEU: 16
; AccumOffset: 16
; Occupancy: 8
; WaveLimiterHint : 0
; COMPUTE_PGM_RSRC2:SCRATCH_EN: 0
; COMPUTE_PGM_RSRC2:USER_SGPR: 6
; COMPUTE_PGM_RSRC2:TRAP_HANDLER: 0
; COMPUTE_PGM_RSRC2:TGID_X_EN: 1
; COMPUTE_PGM_RSRC2:TGID_Y_EN: 0
; COMPUTE_PGM_RSRC2:TGID_Z_EN: 0
; COMPUTE_PGM_RSRC2:TIDIG_COMP_CNT: 0
; COMPUTE_PGM_RSRC3_GFX90A:ACCUM_OFFSET: 3
; COMPUTE_PGM_RSRC3_GFX90A:TG_SPLIT: 0
	.section	.text._Z11rank_kernelILj64ELj1ELj5ELb0EL18RadixRankAlgorithm0EyEvPKT4_Pijj,"axG",@progbits,_Z11rank_kernelILj64ELj1ELj5ELb0EL18RadixRankAlgorithm0EyEvPKT4_Pijj,comdat
	.protected	_Z11rank_kernelILj64ELj1ELj5ELb0EL18RadixRankAlgorithm0EyEvPKT4_Pijj ; -- Begin function _Z11rank_kernelILj64ELj1ELj5ELb0EL18RadixRankAlgorithm0EyEvPKT4_Pijj
	.globl	_Z11rank_kernelILj64ELj1ELj5ELb0EL18RadixRankAlgorithm0EyEvPKT4_Pijj
	.p2align	8
	.type	_Z11rank_kernelILj64ELj1ELj5ELb0EL18RadixRankAlgorithm0EyEvPKT4_Pijj,@function
_Z11rank_kernelILj64ELj1ELj5ELb0EL18RadixRankAlgorithm0EyEvPKT4_Pijj: ; @_Z11rank_kernelILj64ELj1ELj5ELb0EL18RadixRankAlgorithm0EyEvPKT4_Pijj
; %bb.0:
	s_load_dwordx4 s[0:3], s[4:5], 0x0
	s_lshl_b32 s6, s6, 6
	s_mov_b32 s7, 0
	s_lshl_b64 s[8:9], s[6:7], 3
	v_lshlrev_b32_e32 v1, 3, v0
	s_waitcnt lgkmcnt(0)
	s_add_u32 s0, s0, s8
	s_addc_u32 s1, s1, s9
	global_load_dwordx2 v[2:3], v1, s[0:1]
	v_xor_b32_e32 v1, 0x3ff, v0
	s_movk_i32 s0, 0xbf
	v_cmp_lt_u32_e32 vcc, s0, v1
	s_mov_b64 s[8:9], -1
	v_mov_b32_e32 v4, v0
	s_and_saveexec_b64 s[0:1], vcc
	s_cbranch_execz .LBB5_4
; %bb.1:
	v_lshrrev_b32_e32 v1, 6, v1
	v_add_u32_e32 v6, 1, v1
	v_and_b32_e32 v7, 28, v6
	v_or_b32_e32 v1, 64, v0
	s_mov_b64 s[8:9], 0
	v_mov_b32_e32 v8, 0
	v_mov_b32_e32 v9, v7
	v_pk_mov_b32 v[4:5], v[0:1], v[0:1] op_sel:[0,1]
.LBB5_2:                                ; =>This Inner Loop Header: Depth=1
	v_add_u32_e32 v9, -4, v9
	v_cmp_eq_u32_e32 vcc, 0, v9
	v_lshlrev_b32_e32 v1, 2, v5
	v_lshlrev_b32_e32 v10, 2, v4
	v_add_u32_e32 v5, 0x100, v5
	v_add_u32_e32 v4, 0x100, v4
	s_or_b64 s[8:9], vcc, s[8:9]
	ds_write_b32 v10, v8
	ds_write_b32 v1, v8
	ds_write_b32 v10, v8 offset:512
	ds_write_b32 v1, v8 offset:512
	s_andn2_b64 exec, exec, s[8:9]
	s_cbranch_execnz .LBB5_2
; %bb.3:
	s_or_b64 exec, exec, s[8:9]
	v_cmp_ne_u32_e32 vcc, v6, v7
	v_lshl_or_b32 v4, v7, 6, v0
	s_orn2_b64 s[8:9], vcc, exec
.LBB5_4:
	s_or_b64 exec, exec, s[0:1]
	s_and_saveexec_b64 s[0:1], s[8:9]
	s_cbranch_execz .LBB5_7
; %bb.5:
	v_lshlrev_b32_e32 v1, 2, v4
	v_subrev_u32_e32 v4, 64, v4
	s_mov_b64 s[8:9], 0
	v_mov_b32_e32 v5, 0
	s_movk_i32 s10, 0x3bf
.LBB5_6:                                ; =>This Inner Loop Header: Depth=1
	v_add_u32_e32 v4, 64, v4
	v_cmp_lt_u32_e32 vcc, s10, v4
	ds_write_b32 v1, v5
	s_or_b64 s[8:9], vcc, s[8:9]
	v_add_u32_e32 v1, 0x100, v1
	s_andn2_b64 exec, exec, s[8:9]
	s_cbranch_execnz .LBB5_6
.LBB5_7:
	s_or_b64 exec, exec, s[0:1]
	s_load_dwordx2 s[0:1], s[4:5], 0x10
	s_waitcnt lgkmcnt(0)
	s_and_b32 s1, s1, 63
	s_and_b32 s0, s0, 63
	s_add_i32 s0, s0, s1
	s_sub_i32 s4, 64, s1
	s_sub_i32 s0, 64, s0
	s_waitcnt vmcnt(0)
	v_lshlrev_b64 v[2:3], s0, v[2:3]
	s_cmp_lg_u32 s1, 0
	v_lshrrev_b64 v[2:3], s4, v[2:3]
	s_cselect_b64 vcc, -1, 0
	v_cndmask_b32_e32 v1, 0, v2, vcc
	v_lshrrev_b32_e32 v2, 4, v1
	v_lshlrev_b32_e32 v1, 6, v1
	s_movk_i32 s0, 0x3c0
	v_and_or_b32 v1, v1, s0, v0
	v_lshlrev_b32_e32 v1, 1, v1
	v_add_lshl_u32 v1, v1, v2, 1
	ds_read_u16 v2, v1
	s_waitcnt lgkmcnt(0)
	v_add_u16_e32 v3, 1, v2
	ds_write_b16 v1, v3
	v_lshlrev_b32_e32 v3, 6, v0
	s_waitcnt lgkmcnt(0)
	; wave barrier
	s_waitcnt lgkmcnt(0)
	ds_read2_b32 v[4:5], v3 offset1:1
	ds_read2_b32 v[6:7], v3 offset0:2 offset1:3
	ds_read2_b32 v[8:9], v3 offset0:4 offset1:5
	;; [unrolled: 1-line block ×3, first 2 shown]
	s_waitcnt lgkmcnt(3)
	v_add_u32_e32 v4, v5, v4
	s_waitcnt lgkmcnt(2)
	v_add3_u32 v4, v4, v6, v7
	s_waitcnt lgkmcnt(1)
	v_add3_u32 v14, v4, v8, v9
	ds_read2_b32 v[4:5], v3 offset0:8 offset1:9
	ds_read2_b32 v[6:7], v3 offset0:10 offset1:11
	;; [unrolled: 1-line block ×4, first 2 shown]
	s_waitcnt lgkmcnt(4)
	v_add3_u32 v10, v14, v10, v11
	s_waitcnt lgkmcnt(3)
	v_add3_u32 v4, v10, v4, v5
	;; [unrolled: 2-line block ×5, first 2 shown]
	v_mbcnt_lo_u32_b32 v4, -1, 0
	v_mbcnt_hi_u32_b32 v4, -1, v4
	v_and_b32_e32 v6, 15, v4
	v_mov_b32_dpp v7, v5 row_shr:1 row_mask:0xf bank_mask:0xf
	v_cmp_ne_u32_e32 vcc, 0, v6
	v_cndmask_b32_e32 v7, 0, v7, vcc
	v_add_u32_e32 v5, v7, v5
	v_cmp_lt_u32_e32 vcc, 1, v6
	s_nop 0
	v_mov_b32_dpp v7, v5 row_shr:2 row_mask:0xf bank_mask:0xf
	v_cndmask_b32_e32 v7, 0, v7, vcc
	v_add_u32_e32 v5, v5, v7
	v_cmp_lt_u32_e32 vcc, 3, v6
	s_nop 0
	v_mov_b32_dpp v7, v5 row_shr:4 row_mask:0xf bank_mask:0xf
	;; [unrolled: 5-line block ×3, first 2 shown]
	v_cndmask_b32_e32 v6, 0, v7, vcc
	v_add_u32_e32 v5, v5, v6
	v_bfe_i32 v7, v4, 4, 1
	v_cmp_lt_u32_e32 vcc, 31, v4
	v_mov_b32_dpp v6, v5 row_bcast:15 row_mask:0xf bank_mask:0xf
	v_and_b32_e32 v6, v7, v6
	v_add_u32_e32 v5, v5, v6
	s_nop 1
	v_mov_b32_dpp v6, v5 row_bcast:31 row_mask:0xf bank_mask:0xf
	v_cndmask_b32_e32 v6, 0, v6, vcc
	v_add_u32_e32 v5, v5, v6
	v_cmp_eq_u32_e32 vcc, 63, v0
	s_and_saveexec_b64 s[0:1], vcc
	s_cbranch_execz .LBB5_9
; %bb.8:
	v_mov_b32_e32 v6, 0
	ds_write_b32 v6, v5 offset:4096
.LBB5_9:
	s_or_b64 exec, exec, s[0:1]
	v_add_u32_e32 v6, -1, v4
	v_and_b32_e32 v7, 64, v4
	v_cmp_lt_i32_e32 vcc, v6, v7
	v_cndmask_b32_e32 v6, v6, v4, vcc
	v_lshlrev_b32_e32 v6, 2, v6
	ds_bpermute_b32 v5, v6, v5
	v_mov_b32_e32 v6, 0
	s_waitcnt lgkmcnt(0)
	; wave barrier
	s_waitcnt lgkmcnt(0)
	ds_read_b32 v6, v6 offset:4096
	v_cmp_ne_u32_e32 vcc, 0, v4
	v_cndmask_b32_e32 v7, 0, v5, vcc
	ds_read2_b32 v[4:5], v3 offset1:1
	s_lshl_b64 s[0:1], s[6:7], 2
	s_waitcnt lgkmcnt(1)
	v_lshl_add_u32 v12, v6, 16, v7
	ds_read2_b32 v[6:7], v3 offset0:2 offset1:3
	ds_read2_b32 v[8:9], v3 offset0:4 offset1:5
	;; [unrolled: 1-line block ×3, first 2 shown]
	s_add_u32 s0, s2, s0
	s_waitcnt lgkmcnt(3)
	v_add_u32_e32 v4, v12, v4
	ds_write2_b32 v3, v12, v4 offset1:1
	v_add_u32_e32 v4, v5, v4
	s_waitcnt lgkmcnt(3)
	v_add_u32_e32 v5, v6, v4
	ds_write2_b32 v3, v4, v5 offset0:2 offset1:3
	v_add_u32_e32 v4, v7, v5
	s_waitcnt lgkmcnt(3)
	v_add_u32_e32 v5, v8, v4
	ds_write2_b32 v3, v4, v5 offset0:4 offset1:5
	;; [unrolled: 4-line block ×3, first 2 shown]
	ds_read2_b32 v[4:5], v3 offset0:8 offset1:9
	v_add_u32_e32 v10, v11, v6
	ds_read2_b32 v[6:7], v3 offset0:10 offset1:11
	ds_read2_b32 v[8:9], v3 offset0:12 offset1:13
	ds_read_b32 v11, v3 offset:56
	s_addc_u32 s1, s3, s1
	v_lshlrev_b32_e32 v0, 2, v0
	s_waitcnt lgkmcnt(3)
	v_add_u32_e32 v4, v4, v10
	ds_write2_b32 v3, v10, v4 offset0:8 offset1:9
	v_add_u32_e32 v4, v5, v4
	s_waitcnt lgkmcnt(3)
	v_add_u32_e32 v5, v6, v4
	ds_write2_b32 v3, v4, v5 offset0:10 offset1:11
	v_add_u32_e32 v4, v7, v5
	;; [unrolled: 4-line block ×3, first 2 shown]
	s_waitcnt lgkmcnt(3)
	v_add_u32_e32 v5, v11, v4
	ds_write2_b32 v3, v4, v5 offset0:14 offset1:15
	s_waitcnt lgkmcnt(0)
	; wave barrier
	s_waitcnt lgkmcnt(0)
	ds_read_u16 v1, v1
	s_waitcnt lgkmcnt(0)
	v_add_u32_sdwa v1, v1, v2 dst_sel:DWORD dst_unused:UNUSED_PAD src0_sel:DWORD src1_sel:WORD_0
	global_store_dword v0, v1, s[0:1]
	s_endpgm
	.section	.rodata,"a",@progbits
	.p2align	6, 0x0
	.amdhsa_kernel _Z11rank_kernelILj64ELj1ELj5ELb0EL18RadixRankAlgorithm0EyEvPKT4_Pijj
		.amdhsa_group_segment_fixed_size 4112
		.amdhsa_private_segment_fixed_size 0
		.amdhsa_kernarg_size 24
		.amdhsa_user_sgpr_count 6
		.amdhsa_user_sgpr_private_segment_buffer 1
		.amdhsa_user_sgpr_dispatch_ptr 0
		.amdhsa_user_sgpr_queue_ptr 0
		.amdhsa_user_sgpr_kernarg_segment_ptr 1
		.amdhsa_user_sgpr_dispatch_id 0
		.amdhsa_user_sgpr_flat_scratch_init 0
		.amdhsa_user_sgpr_kernarg_preload_length 0
		.amdhsa_user_sgpr_kernarg_preload_offset 0
		.amdhsa_user_sgpr_private_segment_size 0
		.amdhsa_uses_dynamic_stack 0
		.amdhsa_system_sgpr_private_segment_wavefront_offset 0
		.amdhsa_system_sgpr_workgroup_id_x 1
		.amdhsa_system_sgpr_workgroup_id_y 0
		.amdhsa_system_sgpr_workgroup_id_z 0
		.amdhsa_system_sgpr_workgroup_info 0
		.amdhsa_system_vgpr_workitem_id 0
		.amdhsa_next_free_vgpr 15
		.amdhsa_next_free_sgpr 11
		.amdhsa_accum_offset 16
		.amdhsa_reserve_vcc 1
		.amdhsa_reserve_flat_scratch 0
		.amdhsa_float_round_mode_32 0
		.amdhsa_float_round_mode_16_64 0
		.amdhsa_float_denorm_mode_32 3
		.amdhsa_float_denorm_mode_16_64 3
		.amdhsa_dx10_clamp 1
		.amdhsa_ieee_mode 1
		.amdhsa_fp16_overflow 0
		.amdhsa_tg_split 0
		.amdhsa_exception_fp_ieee_invalid_op 0
		.amdhsa_exception_fp_denorm_src 0
		.amdhsa_exception_fp_ieee_div_zero 0
		.amdhsa_exception_fp_ieee_overflow 0
		.amdhsa_exception_fp_ieee_underflow 0
		.amdhsa_exception_fp_ieee_inexact 0
		.amdhsa_exception_int_div_zero 0
	.end_amdhsa_kernel
	.section	.text._Z11rank_kernelILj64ELj1ELj5ELb0EL18RadixRankAlgorithm0EyEvPKT4_Pijj,"axG",@progbits,_Z11rank_kernelILj64ELj1ELj5ELb0EL18RadixRankAlgorithm0EyEvPKT4_Pijj,comdat
.Lfunc_end5:
	.size	_Z11rank_kernelILj64ELj1ELj5ELb0EL18RadixRankAlgorithm0EyEvPKT4_Pijj, .Lfunc_end5-_Z11rank_kernelILj64ELj1ELj5ELb0EL18RadixRankAlgorithm0EyEvPKT4_Pijj
                                        ; -- End function
	.section	.AMDGPU.csdata,"",@progbits
; Kernel info:
; codeLenInByte = 1100
; NumSgprs: 15
; NumVgprs: 15
; NumAgprs: 0
; TotalNumVgprs: 15
; ScratchSize: 0
; MemoryBound: 0
; FloatMode: 240
; IeeeMode: 1
; LDSByteSize: 4112 bytes/workgroup (compile time only)
; SGPRBlocks: 1
; VGPRBlocks: 1
; NumSGPRsForWavesPerEU: 15
; NumVGPRsForWavesPerEU: 15
; AccumOffset: 16
; Occupancy: 4
; WaveLimiterHint : 0
; COMPUTE_PGM_RSRC2:SCRATCH_EN: 0
; COMPUTE_PGM_RSRC2:USER_SGPR: 6
; COMPUTE_PGM_RSRC2:TRAP_HANDLER: 0
; COMPUTE_PGM_RSRC2:TGID_X_EN: 1
; COMPUTE_PGM_RSRC2:TGID_Y_EN: 0
; COMPUTE_PGM_RSRC2:TGID_Z_EN: 0
; COMPUTE_PGM_RSRC2:TIDIG_COMP_CNT: 0
; COMPUTE_PGM_RSRC3_GFX90A:ACCUM_OFFSET: 3
; COMPUTE_PGM_RSRC3_GFX90A:TG_SPLIT: 0
	.section	.text._Z11rank_kernelILj234ELj9ELj4ELb0EL18RadixRankAlgorithm0E12hip_bfloat16EvPKT4_Pijj,"axG",@progbits,_Z11rank_kernelILj234ELj9ELj4ELb0EL18RadixRankAlgorithm0E12hip_bfloat16EvPKT4_Pijj,comdat
	.protected	_Z11rank_kernelILj234ELj9ELj4ELb0EL18RadixRankAlgorithm0E12hip_bfloat16EvPKT4_Pijj ; -- Begin function _Z11rank_kernelILj234ELj9ELj4ELb0EL18RadixRankAlgorithm0E12hip_bfloat16EvPKT4_Pijj
	.globl	_Z11rank_kernelILj234ELj9ELj4ELb0EL18RadixRankAlgorithm0E12hip_bfloat16EvPKT4_Pijj
	.p2align	8
	.type	_Z11rank_kernelILj234ELj9ELj4ELb0EL18RadixRankAlgorithm0E12hip_bfloat16EvPKT4_Pijj,@function
_Z11rank_kernelILj234ELj9ELj4ELb0EL18RadixRankAlgorithm0E12hip_bfloat16EvPKT4_Pijj: ; @_Z11rank_kernelILj234ELj9ELj4ELb0EL18RadixRankAlgorithm0E12hip_bfloat16EvPKT4_Pijj
; %bb.0:
	s_load_dwordx4 s[0:3], s[4:5], 0x0
	s_mulk_i32 s6, 0x83a
	s_mov_b32 s7, 0
	s_lshl_b64 s[8:9], s[6:7], 1
	v_mul_u32_u24_e32 v6, 9, v0
	s_waitcnt lgkmcnt(0)
	s_add_u32 s0, s0, s8
	s_addc_u32 s1, s1, s9
	v_lshlrev_b32_e32 v1, 1, v6
	global_load_dwordx4 v[2:5], v1, s[0:1]
	global_load_ushort v12, v1, s[0:1] offset:16
	v_sub_u32_e32 v1, 0x665, v0
	s_mov_b32 s0, 0x1181182
	v_mul_hi_u32 v1, v1, s0
	v_add_u32_e32 v7, 3, v1
	v_add_u32_e32 v8, 1, v1
	;; [unrolled: 1-line block ×3, first 2 shown]
	v_mov_b32_e32 v9, 0
	v_and_b32_e32 v13, 30, v7
	v_mov_b32_e32 v7, v8
	s_mov_b64 s[8:9], 0
	s_mov_b32 s12, s7
	v_pk_mov_b32 v[10:11], v[0:1], v[0:1] op_sel:[0,1]
	s_branch .LBB6_2
.LBB6_1:                                ;   in Loop: Header=BB6_2 Depth=1
	s_or_b64 exec, exec, s[0:1]
	s_add_i32 s12, s12, 2
	v_cmp_eq_u32_e32 vcc, s12, v13
	v_add_u32_e32 v11, 0x1d4, v11
	s_or_b64 s[8:9], vcc, s[8:9]
	v_add_u32_e32 v10, 0x1d4, v10
	s_andn2_b64 exec, exec, s[8:9]
	s_cbranch_execz .LBB6_6
.LBB6_2:                                ; =>This Inner Loop Header: Depth=1
	s_or_b32 s0, s12, 1
	v_cmp_le_u32_e32 vcc, s0, v7
	v_cmp_le_u32_e64 s[0:1], s12, v8
	s_and_saveexec_b64 s[10:11], s[0:1]
	s_cbranch_execz .LBB6_4
; %bb.3:                                ;   in Loop: Header=BB6_2 Depth=1
	v_lshlrev_b32_e32 v1, 2, v10
	ds_write_b32 v1, v9
.LBB6_4:                                ;   in Loop: Header=BB6_2 Depth=1
	s_or_b64 exec, exec, s[10:11]
	s_and_saveexec_b64 s[0:1], vcc
	s_cbranch_execz .LBB6_1
; %bb.5:                                ;   in Loop: Header=BB6_2 Depth=1
	v_lshlrev_b32_e32 v1, 2, v11
	ds_write_b32 v1, v9
	s_branch .LBB6_1
.LBB6_6:
	s_or_b64 exec, exec, s[8:9]
	s_load_dwordx2 s[4:5], s[4:5], 0x10
	v_mov_b32_e32 v19, 0xffff8000
	s_waitcnt vmcnt(1)
	v_cmp_lt_i16_e32 vcc, -1, v2
	v_cndmask_b32_e32 v1, -1, v19, vcc
	v_xor_b32_e32 v1, v1, v2
	s_waitcnt lgkmcnt(0)
	s_and_b32 s5, s5, 31
	s_cmp_eq_u32 s5, 0
	s_cselect_b64 s[0:1], -1, 0
	s_and_b32 s4, s4, 31
	s_movk_i32 s8, 0x7fff
	s_add_i32 s4, s4, s5
	v_cmp_ne_u16_e32 vcc, s8, v1
	s_sub_i32 s4, 32, s4
	v_cndmask_b32_e32 v1, v19, v1, vcc
	s_sub_i32 s5, 32, s5
	v_lshlrev_b32_sdwa v1, s4, v1 dst_sel:DWORD dst_unused:UNUSED_PAD src0_sel:DWORD src1_sel:WORD_0
	v_bfe_u32 v1, v1, s5, 16
	v_cndmask_b32_e64 v1, v1, 0, s[0:1]
	v_and_b32_e32 v7, 7, v1
	v_mul_u32_u24_e32 v7, 0xea, v7
	v_mov_b32_e32 v18, -1
	v_lshrrev_b32_e32 v1, 3, v1
	v_add_lshl_u32 v7, v7, v0, 1
	v_cmp_gt_i16_sdwa vcc, v2, v18 src0_sel:WORD_1 src1_sel:DWORD
	v_add_lshl_u32 v7, v7, v1, 1
	v_cndmask_b32_e32 v8, -1, v19, vcc
	ds_read_u16 v1, v7
	v_xor_b32_sdwa v2, v8, v2 dst_sel:DWORD dst_unused:UNUSED_PAD src0_sel:DWORD src1_sel:WORD_1
	v_cmp_ne_u16_e32 vcc, s8, v2
	v_cndmask_b32_e32 v2, v19, v2, vcc
	v_lshlrev_b32_sdwa v2, s4, v2 dst_sel:DWORD dst_unused:UNUSED_PAD src0_sel:DWORD src1_sel:WORD_0
	v_bfe_u32 v2, v2, s5, 16
	s_waitcnt lgkmcnt(0)
	v_add_u16_e32 v8, 1, v1
	v_cndmask_b32_e64 v2, v2, 0, s[0:1]
	ds_write_b16 v7, v8
	v_and_b32_e32 v8, 7, v2
	v_mul_u32_u24_e32 v8, 0xea, v8
	v_lshrrev_b32_e32 v2, 3, v2
	v_add_lshl_u32 v8, v8, v0, 1
	v_cmp_lt_i16_e32 vcc, -1, v3
	v_add_lshl_u32 v8, v8, v2, 1
	v_cndmask_b32_e32 v9, -1, v19, vcc
	ds_read_u16 v2, v8
	v_xor_b32_e32 v9, v9, v3
	v_cmp_ne_u16_e32 vcc, s8, v9
	v_cndmask_b32_e32 v9, v19, v9, vcc
	v_lshlrev_b32_sdwa v9, s4, v9 dst_sel:DWORD dst_unused:UNUSED_PAD src0_sel:DWORD src1_sel:WORD_0
	v_bfe_u32 v9, v9, s5, 16
	s_waitcnt lgkmcnt(0)
	v_add_u16_e32 v10, 1, v2
	v_cndmask_b32_e64 v9, v9, 0, s[0:1]
	ds_write_b16 v8, v10
	v_and_b32_e32 v10, 7, v9
	v_mul_u32_u24_e32 v10, 0xea, v10
	v_lshrrev_b32_e32 v9, 3, v9
	v_add_lshl_u32 v10, v10, v0, 1
	v_cmp_gt_i16_sdwa vcc, v3, v18 src0_sel:WORD_1 src1_sel:DWORD
	v_add_lshl_u32 v10, v10, v9, 1
	v_cndmask_b32_e32 v11, -1, v19, vcc
	ds_read_u16 v9, v10
	v_xor_b32_sdwa v3, v11, v3 dst_sel:DWORD dst_unused:UNUSED_PAD src0_sel:DWORD src1_sel:WORD_1
	v_cmp_ne_u16_e32 vcc, s8, v3
	v_cndmask_b32_e32 v3, v19, v3, vcc
	v_lshlrev_b32_sdwa v3, s4, v3 dst_sel:DWORD dst_unused:UNUSED_PAD src0_sel:DWORD src1_sel:WORD_0
	v_bfe_u32 v3, v3, s5, 16
	s_waitcnt lgkmcnt(0)
	v_add_u16_e32 v11, 1, v9
	v_cndmask_b32_e64 v3, v3, 0, s[0:1]
	ds_write_b16 v10, v11
	v_and_b32_e32 v11, 7, v3
	v_mul_u32_u24_e32 v11, 0xea, v11
	v_lshrrev_b32_e32 v3, 3, v3
	v_add_lshl_u32 v11, v11, v0, 1
	v_cmp_lt_i16_e32 vcc, -1, v4
	v_add_lshl_u32 v11, v11, v3, 1
	v_cndmask_b32_e32 v13, -1, v19, vcc
	ds_read_u16 v3, v11
	v_xor_b32_e32 v13, v13, v4
	v_cmp_ne_u16_e32 vcc, s8, v13
	v_cndmask_b32_e32 v13, v19, v13, vcc
	v_lshlrev_b32_sdwa v13, s4, v13 dst_sel:DWORD dst_unused:UNUSED_PAD src0_sel:DWORD src1_sel:WORD_0
	v_bfe_u32 v13, v13, s5, 16
	s_waitcnt lgkmcnt(0)
	v_add_u16_e32 v14, 1, v3
	v_cndmask_b32_e64 v13, v13, 0, s[0:1]
	ds_write_b16 v11, v14
	v_and_b32_e32 v14, 7, v13
	v_mul_u32_u24_e32 v14, 0xea, v14
	;; [unrolled: 34-line block ×3, first 2 shown]
	v_lshrrev_b32_e32 v16, 3, v16
	v_add_lshl_u32 v17, v17, v0, 1
	v_cmp_gt_i16_sdwa vcc, v5, v18 src0_sel:WORD_1 src1_sel:DWORD
	v_add_lshl_u32 v17, v17, v16, 1
	v_cndmask_b32_e32 v18, -1, v19, vcc
	ds_read_u16 v16, v17
	v_xor_b32_sdwa v5, v18, v5 dst_sel:DWORD dst_unused:UNUSED_PAD src0_sel:DWORD src1_sel:WORD_1
	v_cmp_ne_u16_e32 vcc, s8, v5
	v_cndmask_b32_e32 v5, v19, v5, vcc
	v_lshlrev_b32_sdwa v5, s4, v5 dst_sel:DWORD dst_unused:UNUSED_PAD src0_sel:DWORD src1_sel:WORD_0
	v_bfe_u32 v5, v5, s5, 16
	s_waitcnt lgkmcnt(0)
	v_add_u16_e32 v18, 1, v16
	v_cndmask_b32_e64 v5, v5, 0, s[0:1]
	s_waitcnt vmcnt(0)
	v_cmp_lt_i16_e32 vcc, -1, v12
	ds_write_b16 v17, v18
	v_and_b32_e32 v18, 7, v5
	v_cndmask_b32_e32 v20, -1, v19, vcc
	v_mul_u32_u24_e32 v18, 0xea, v18
	v_xor_b32_e32 v12, v20, v12
	v_lshrrev_b32_e32 v5, 3, v5
	v_add_lshl_u32 v18, v18, v0, 1
	v_cmp_ne_u16_e32 vcc, s8, v12
	v_add_lshl_u32 v18, v18, v5, 1
	v_cndmask_b32_e32 v12, v19, v12, vcc
	ds_read_u16 v5, v18
	v_lshlrev_b32_sdwa v12, s4, v12 dst_sel:DWORD dst_unused:UNUSED_PAD src0_sel:DWORD src1_sel:WORD_0
	v_bfe_u32 v12, v12, s5, 16
	v_cndmask_b32_e64 v12, v12, 0, s[0:1]
	v_and_b32_e32 v19, 7, v12
	v_mul_u32_u24_e32 v19, 0xea, v19
	s_waitcnt lgkmcnt(0)
	v_add_u16_e32 v20, 1, v5
	v_lshrrev_b32_e32 v12, 3, v12
	v_add_lshl_u32 v19, v19, v0, 1
	ds_write_b16 v18, v20
	v_add_lshl_u32 v19, v19, v12, 1
	ds_read_u16 v12, v19
	s_waitcnt lgkmcnt(0)
	v_add_u16_e32 v20, 1, v12
	ds_write_b16 v19, v20
	v_lshlrev_b32_e32 v20, 5, v0
	s_waitcnt lgkmcnt(0)
	s_barrier
	ds_read2_b32 v[22:23], v20 offset1:1
	ds_read2_b32 v[24:25], v20 offset0:2 offset1:3
	ds_read2_b32 v[26:27], v20 offset0:4 offset1:5
	;; [unrolled: 1-line block ×3, first 2 shown]
	s_waitcnt lgkmcnt(3)
	v_add_u32_e32 v21, v23, v22
	s_waitcnt lgkmcnt(2)
	v_add3_u32 v21, v21, v24, v25
	s_waitcnt lgkmcnt(1)
	v_add3_u32 v21, v21, v26, v27
	s_waitcnt lgkmcnt(0)
	v_add3_u32 v22, v21, v28, v29
	v_mbcnt_lo_u32_b32 v21, -1, 0
	v_mbcnt_hi_u32_b32 v21, -1, v21
	v_and_b32_e32 v23, 15, v21
	v_mov_b32_dpp v24, v22 row_shr:1 row_mask:0xf bank_mask:0xf
	v_cmp_ne_u32_e32 vcc, 0, v23
	v_cndmask_b32_e32 v24, 0, v24, vcc
	v_add_u32_e32 v22, v24, v22
	v_cmp_lt_u32_e32 vcc, 1, v23
	s_nop 0
	v_mov_b32_dpp v24, v22 row_shr:2 row_mask:0xf bank_mask:0xf
	v_cndmask_b32_e32 v24, 0, v24, vcc
	v_add_u32_e32 v22, v22, v24
	v_cmp_lt_u32_e32 vcc, 3, v23
	s_nop 0
	v_mov_b32_dpp v24, v22 row_shr:4 row_mask:0xf bank_mask:0xf
	;; [unrolled: 5-line block ×3, first 2 shown]
	v_cndmask_b32_e32 v23, 0, v24, vcc
	v_add_u32_e32 v22, v22, v23
	v_bfe_i32 v24, v21, 4, 1
	v_cmp_lt_u32_e32 vcc, 31, v21
	v_mov_b32_dpp v23, v22 row_bcast:15 row_mask:0xf bank_mask:0xf
	v_and_b32_e32 v23, v24, v23
	v_add_u32_e32 v22, v22, v23
	v_and_b32_e32 v24, 0xc0, v0
	v_min_u32_e32 v24, 0xaa, v24
	v_mov_b32_dpp v23, v22 row_bcast:31 row_mask:0xf bank_mask:0xf
	v_cndmask_b32_e32 v23, 0, v23, vcc
	v_add_u32_e32 v22, v22, v23
	v_lshrrev_b32_e32 v23, 6, v0
	v_add_u32_e32 v24, 63, v24
	v_cmp_eq_u32_e32 vcc, v24, v0
	v_lshlrev_b32_e32 v23, 2, v23
	s_and_saveexec_b64 s[0:1], vcc
	s_cbranch_execz .LBB6_8
; %bb.7:
	ds_write_b32 v23, v22 offset:7488
.LBB6_8:
	s_or_b64 exec, exec, s[0:1]
	v_cmp_gt_u32_e32 vcc, 4, v0
	s_waitcnt lgkmcnt(0)
	s_barrier
	s_and_saveexec_b64 s[0:1], vcc
	s_cbranch_execz .LBB6_10
; %bb.9:
	v_lshlrev_b32_e32 v24, 2, v0
	ds_read_b32 v25, v24 offset:7488
	v_and_b32_e32 v26, 3, v21
	v_cmp_ne_u32_e32 vcc, 0, v26
	s_waitcnt lgkmcnt(0)
	v_mov_b32_dpp v27, v25 row_shr:1 row_mask:0xf bank_mask:0xf
	v_cndmask_b32_e32 v27, 0, v27, vcc
	v_add_u32_e32 v25, v27, v25
	v_cmp_lt_u32_e32 vcc, 1, v26
	s_nop 0
	v_mov_b32_dpp v27, v25 row_shr:2 row_mask:0xf bank_mask:0xf
	v_cndmask_b32_e32 v26, 0, v27, vcc
	v_add_u32_e32 v25, v25, v26
	ds_write_b32 v24, v25 offset:7488
.LBB6_10:
	s_or_b64 exec, exec, s[0:1]
	v_cmp_lt_u32_e32 vcc, 63, v0
	v_mov_b32_e32 v0, 0
	v_mov_b32_e32 v24, 0
	s_waitcnt lgkmcnt(0)
	s_barrier
	s_and_saveexec_b64 s[0:1], vcc
	s_cbranch_execz .LBB6_12
; %bb.11:
	ds_read_b32 v24, v23 offset:7484
.LBB6_12:
	s_or_b64 exec, exec, s[0:1]
	v_add_u32_e32 v23, -1, v21
	v_and_b32_e32 v25, 64, v21
	v_cmp_lt_i32_e32 vcc, v23, v25
	v_cndmask_b32_e32 v23, v23, v21, vcc
	s_waitcnt lgkmcnt(0)
	v_add_u32_e32 v22, v24, v22
	v_lshlrev_b32_e32 v23, 2, v23
	ds_bpermute_b32 v22, v23, v22
	ds_read_b32 v0, v0 offset:7500
	v_cmp_eq_u32_e32 vcc, 0, v21
	s_lshl_b64 s[0:1], s[6:7], 2
	s_add_u32 s0, s2, s0
	s_waitcnt lgkmcnt(1)
	v_cndmask_b32_e32 v21, v22, v24, vcc
	ds_read2_b32 v[22:23], v20 offset1:1
	s_waitcnt lgkmcnt(1)
	v_lshl_add_u32 v0, v0, 16, v21
	ds_read2_b32 v[24:25], v20 offset0:2 offset1:3
	ds_read2_b32 v[26:27], v20 offset0:4 offset1:5
	ds_read_b32 v21, v20 offset:24
	s_addc_u32 s1, s3, s1
	s_waitcnt lgkmcnt(3)
	v_add_u32_e32 v22, v0, v22
	ds_write2_b32 v20, v0, v22 offset1:1
	v_add_u32_e32 v0, v23, v22
	s_waitcnt lgkmcnt(3)
	v_add_u32_e32 v22, v24, v0
	ds_write2_b32 v20, v0, v22 offset0:2 offset1:3
	v_add_u32_e32 v0, v25, v22
	s_waitcnt lgkmcnt(3)
	v_add_u32_e32 v22, v26, v0
	ds_write2_b32 v20, v0, v22 offset0:4 offset1:5
	;; [unrolled: 4-line block ×3, first 2 shown]
	s_waitcnt lgkmcnt(0)
	s_barrier
	ds_read_u16 v0, v7
	ds_read_u16 v7, v8
	;; [unrolled: 1-line block ×8, first 2 shown]
	s_waitcnt lgkmcnt(7)
	v_add_u32_sdwa v0, v0, v1 dst_sel:DWORD dst_unused:UNUSED_PAD src0_sel:DWORD src1_sel:WORD_0
	s_waitcnt lgkmcnt(6)
	v_add_u32_sdwa v1, v7, v2 dst_sel:DWORD dst_unused:UNUSED_PAD src0_sel:DWORD src1_sel:WORD_0
	ds_read_u16 v7, v19
	s_waitcnt lgkmcnt(6)
	v_add_u32_sdwa v2, v8, v9 dst_sel:DWORD dst_unused:UNUSED_PAD src0_sel:DWORD src1_sel:WORD_0
	s_waitcnt lgkmcnt(5)
	v_add_u32_sdwa v3, v10, v3 dst_sel:DWORD dst_unused:UNUSED_PAD src0_sel:DWORD src1_sel:WORD_0
	;; [unrolled: 2-line block ×4, first 2 shown]
	v_lshlrev_b32_e32 v5, 2, v6
	v_add_u32_sdwa v9, v14, v4 dst_sel:DWORD dst_unused:UNUSED_PAD src0_sel:DWORD src1_sel:WORD_0
	v_add_u32_sdwa v10, v15, v16 dst_sel:DWORD dst_unused:UNUSED_PAD src0_sel:DWORD src1_sel:WORD_0
	s_waitcnt lgkmcnt(0)
	v_add_u32_sdwa v4, v7, v12 dst_sel:DWORD dst_unused:UNUSED_PAD src0_sel:DWORD src1_sel:WORD_0
	global_store_dwordx4 v5, v[0:3], s[0:1]
	global_store_dwordx4 v5, v[8:11], s[0:1] offset:16
	global_store_dword v5, v4, s[0:1] offset:32
	s_endpgm
	.section	.rodata,"a",@progbits
	.p2align	6, 0x0
	.amdhsa_kernel _Z11rank_kernelILj234ELj9ELj4ELb0EL18RadixRankAlgorithm0E12hip_bfloat16EvPKT4_Pijj
		.amdhsa_group_segment_fixed_size 8432
		.amdhsa_private_segment_fixed_size 0
		.amdhsa_kernarg_size 24
		.amdhsa_user_sgpr_count 6
		.amdhsa_user_sgpr_private_segment_buffer 1
		.amdhsa_user_sgpr_dispatch_ptr 0
		.amdhsa_user_sgpr_queue_ptr 0
		.amdhsa_user_sgpr_kernarg_segment_ptr 1
		.amdhsa_user_sgpr_dispatch_id 0
		.amdhsa_user_sgpr_flat_scratch_init 0
		.amdhsa_user_sgpr_kernarg_preload_length 0
		.amdhsa_user_sgpr_kernarg_preload_offset 0
		.amdhsa_user_sgpr_private_segment_size 0
		.amdhsa_uses_dynamic_stack 0
		.amdhsa_system_sgpr_private_segment_wavefront_offset 0
		.amdhsa_system_sgpr_workgroup_id_x 1
		.amdhsa_system_sgpr_workgroup_id_y 0
		.amdhsa_system_sgpr_workgroup_id_z 0
		.amdhsa_system_sgpr_workgroup_info 0
		.amdhsa_system_vgpr_workitem_id 0
		.amdhsa_next_free_vgpr 30
		.amdhsa_next_free_sgpr 13
		.amdhsa_accum_offset 32
		.amdhsa_reserve_vcc 1
		.amdhsa_reserve_flat_scratch 0
		.amdhsa_float_round_mode_32 0
		.amdhsa_float_round_mode_16_64 0
		.amdhsa_float_denorm_mode_32 3
		.amdhsa_float_denorm_mode_16_64 3
		.amdhsa_dx10_clamp 1
		.amdhsa_ieee_mode 1
		.amdhsa_fp16_overflow 0
		.amdhsa_tg_split 0
		.amdhsa_exception_fp_ieee_invalid_op 0
		.amdhsa_exception_fp_denorm_src 0
		.amdhsa_exception_fp_ieee_div_zero 0
		.amdhsa_exception_fp_ieee_overflow 0
		.amdhsa_exception_fp_ieee_underflow 0
		.amdhsa_exception_fp_ieee_inexact 0
		.amdhsa_exception_int_div_zero 0
	.end_amdhsa_kernel
	.section	.text._Z11rank_kernelILj234ELj9ELj4ELb0EL18RadixRankAlgorithm0E12hip_bfloat16EvPKT4_Pijj,"axG",@progbits,_Z11rank_kernelILj234ELj9ELj4ELb0EL18RadixRankAlgorithm0E12hip_bfloat16EvPKT4_Pijj,comdat
.Lfunc_end6:
	.size	_Z11rank_kernelILj234ELj9ELj4ELb0EL18RadixRankAlgorithm0E12hip_bfloat16EvPKT4_Pijj, .Lfunc_end6-_Z11rank_kernelILj234ELj9ELj4ELb0EL18RadixRankAlgorithm0E12hip_bfloat16EvPKT4_Pijj
                                        ; -- End function
	.section	.AMDGPU.csdata,"",@progbits
; Kernel info:
; codeLenInByte = 2064
; NumSgprs: 17
; NumVgprs: 30
; NumAgprs: 0
; TotalNumVgprs: 30
; ScratchSize: 0
; MemoryBound: 0
; FloatMode: 240
; IeeeMode: 1
; LDSByteSize: 8432 bytes/workgroup (compile time only)
; SGPRBlocks: 2
; VGPRBlocks: 3
; NumSGPRsForWavesPerEU: 17
; NumVGPRsForWavesPerEU: 30
; AccumOffset: 32
; Occupancy: 7
; WaveLimiterHint : 0
; COMPUTE_PGM_RSRC2:SCRATCH_EN: 0
; COMPUTE_PGM_RSRC2:USER_SGPR: 6
; COMPUTE_PGM_RSRC2:TRAP_HANDLER: 0
; COMPUTE_PGM_RSRC2:TGID_X_EN: 1
; COMPUTE_PGM_RSRC2:TGID_Y_EN: 0
; COMPUTE_PGM_RSRC2:TGID_Z_EN: 0
; COMPUTE_PGM_RSRC2:TIDIG_COMP_CNT: 0
; COMPUTE_PGM_RSRC3_GFX90A:ACCUM_OFFSET: 7
; COMPUTE_PGM_RSRC3_GFX90A:TG_SPLIT: 0
	.section	.text._Z11rank_kernelILj234ELj9ELj4ELb0EL18RadixRankAlgorithm0E6__halfEvPKT4_Pijj,"axG",@progbits,_Z11rank_kernelILj234ELj9ELj4ELb0EL18RadixRankAlgorithm0E6__halfEvPKT4_Pijj,comdat
	.protected	_Z11rank_kernelILj234ELj9ELj4ELb0EL18RadixRankAlgorithm0E6__halfEvPKT4_Pijj ; -- Begin function _Z11rank_kernelILj234ELj9ELj4ELb0EL18RadixRankAlgorithm0E6__halfEvPKT4_Pijj
	.globl	_Z11rank_kernelILj234ELj9ELj4ELb0EL18RadixRankAlgorithm0E6__halfEvPKT4_Pijj
	.p2align	8
	.type	_Z11rank_kernelILj234ELj9ELj4ELb0EL18RadixRankAlgorithm0E6__halfEvPKT4_Pijj,@function
_Z11rank_kernelILj234ELj9ELj4ELb0EL18RadixRankAlgorithm0E6__halfEvPKT4_Pijj: ; @_Z11rank_kernelILj234ELj9ELj4ELb0EL18RadixRankAlgorithm0E6__halfEvPKT4_Pijj
; %bb.0:
	s_load_dwordx4 s[0:3], s[4:5], 0x0
	s_mulk_i32 s6, 0x83a
	s_mov_b32 s7, 0
	s_lshl_b64 s[8:9], s[6:7], 1
	v_mul_u32_u24_e32 v6, 9, v0
	s_waitcnt lgkmcnt(0)
	s_add_u32 s0, s0, s8
	s_addc_u32 s1, s1, s9
	v_lshlrev_b32_e32 v1, 1, v6
	global_load_dwordx4 v[2:5], v1, s[0:1]
	global_load_ushort v12, v1, s[0:1] offset:16
	v_sub_u32_e32 v1, 0x665, v0
	s_mov_b32 s0, 0x1181182
	v_mul_hi_u32 v1, v1, s0
	v_add_u32_e32 v7, 3, v1
	v_add_u32_e32 v8, 1, v1
	;; [unrolled: 1-line block ×3, first 2 shown]
	v_mov_b32_e32 v9, 0
	v_and_b32_e32 v13, 30, v7
	v_mov_b32_e32 v7, v8
	s_mov_b64 s[8:9], 0
	s_mov_b32 s12, s7
	v_pk_mov_b32 v[10:11], v[0:1], v[0:1] op_sel:[0,1]
	s_branch .LBB7_2
.LBB7_1:                                ;   in Loop: Header=BB7_2 Depth=1
	s_or_b64 exec, exec, s[0:1]
	s_add_i32 s12, s12, 2
	v_cmp_eq_u32_e32 vcc, s12, v13
	v_add_u32_e32 v11, 0x1d4, v11
	s_or_b64 s[8:9], vcc, s[8:9]
	v_add_u32_e32 v10, 0x1d4, v10
	s_andn2_b64 exec, exec, s[8:9]
	s_cbranch_execz .LBB7_6
.LBB7_2:                                ; =>This Inner Loop Header: Depth=1
	s_or_b32 s0, s12, 1
	v_cmp_le_u32_e32 vcc, s0, v7
	v_cmp_le_u32_e64 s[0:1], s12, v8
	s_and_saveexec_b64 s[10:11], s[0:1]
	s_cbranch_execz .LBB7_4
; %bb.3:                                ;   in Loop: Header=BB7_2 Depth=1
	v_lshlrev_b32_e32 v1, 2, v10
	ds_write_b32 v1, v9
.LBB7_4:                                ;   in Loop: Header=BB7_2 Depth=1
	s_or_b64 exec, exec, s[10:11]
	s_and_saveexec_b64 s[0:1], vcc
	s_cbranch_execz .LBB7_1
; %bb.5:                                ;   in Loop: Header=BB7_2 Depth=1
	v_lshlrev_b32_e32 v1, 2, v11
	ds_write_b32 v1, v9
	s_branch .LBB7_1
.LBB7_6:
	s_or_b64 exec, exec, s[8:9]
	s_load_dwordx2 s[4:5], s[4:5], 0x10
	v_mov_b32_e32 v19, 0xffff8000
	s_waitcnt vmcnt(1)
	v_cmp_lt_i16_e32 vcc, -1, v2
	v_cndmask_b32_e32 v1, -1, v19, vcc
	v_xor_b32_e32 v1, v1, v2
	s_waitcnt lgkmcnt(0)
	s_and_b32 s5, s5, 31
	s_cmp_eq_u32 s5, 0
	s_cselect_b64 s[0:1], -1, 0
	s_and_b32 s4, s4, 31
	s_movk_i32 s8, 0x7fff
	s_add_i32 s4, s4, s5
	v_cmp_ne_u16_e32 vcc, s8, v1
	s_sub_i32 s4, 32, s4
	v_cndmask_b32_e32 v1, v19, v1, vcc
	s_sub_i32 s5, 32, s5
	v_lshlrev_b32_sdwa v1, s4, v1 dst_sel:DWORD dst_unused:UNUSED_PAD src0_sel:DWORD src1_sel:WORD_0
	v_bfe_u32 v1, v1, s5, 16
	v_cndmask_b32_e64 v1, v1, 0, s[0:1]
	v_and_b32_e32 v7, 7, v1
	v_mul_u32_u24_e32 v7, 0xea, v7
	v_mov_b32_e32 v18, -1
	v_lshrrev_b32_e32 v1, 3, v1
	v_add_lshl_u32 v7, v7, v0, 1
	v_cmp_gt_i16_sdwa vcc, v2, v18 src0_sel:WORD_1 src1_sel:DWORD
	v_add_lshl_u32 v7, v7, v1, 1
	v_cndmask_b32_e32 v8, -1, v19, vcc
	ds_read_u16 v1, v7
	v_xor_b32_sdwa v2, v8, v2 dst_sel:DWORD dst_unused:UNUSED_PAD src0_sel:DWORD src1_sel:WORD_1
	v_cmp_ne_u16_e32 vcc, s8, v2
	v_cndmask_b32_e32 v2, v19, v2, vcc
	v_lshlrev_b32_sdwa v2, s4, v2 dst_sel:DWORD dst_unused:UNUSED_PAD src0_sel:DWORD src1_sel:WORD_0
	v_bfe_u32 v2, v2, s5, 16
	s_waitcnt lgkmcnt(0)
	v_add_u16_e32 v8, 1, v1
	v_cndmask_b32_e64 v2, v2, 0, s[0:1]
	ds_write_b16 v7, v8
	v_and_b32_e32 v8, 7, v2
	v_mul_u32_u24_e32 v8, 0xea, v8
	v_lshrrev_b32_e32 v2, 3, v2
	v_add_lshl_u32 v8, v8, v0, 1
	v_cmp_lt_i16_e32 vcc, -1, v3
	v_add_lshl_u32 v8, v8, v2, 1
	v_cndmask_b32_e32 v9, -1, v19, vcc
	ds_read_u16 v2, v8
	v_xor_b32_e32 v9, v9, v3
	v_cmp_ne_u16_e32 vcc, s8, v9
	v_cndmask_b32_e32 v9, v19, v9, vcc
	v_lshlrev_b32_sdwa v9, s4, v9 dst_sel:DWORD dst_unused:UNUSED_PAD src0_sel:DWORD src1_sel:WORD_0
	v_bfe_u32 v9, v9, s5, 16
	s_waitcnt lgkmcnt(0)
	v_add_u16_e32 v10, 1, v2
	v_cndmask_b32_e64 v9, v9, 0, s[0:1]
	ds_write_b16 v8, v10
	v_and_b32_e32 v10, 7, v9
	v_mul_u32_u24_e32 v10, 0xea, v10
	v_lshrrev_b32_e32 v9, 3, v9
	v_add_lshl_u32 v10, v10, v0, 1
	v_cmp_gt_i16_sdwa vcc, v3, v18 src0_sel:WORD_1 src1_sel:DWORD
	v_add_lshl_u32 v10, v10, v9, 1
	v_cndmask_b32_e32 v11, -1, v19, vcc
	ds_read_u16 v9, v10
	v_xor_b32_sdwa v3, v11, v3 dst_sel:DWORD dst_unused:UNUSED_PAD src0_sel:DWORD src1_sel:WORD_1
	v_cmp_ne_u16_e32 vcc, s8, v3
	v_cndmask_b32_e32 v3, v19, v3, vcc
	v_lshlrev_b32_sdwa v3, s4, v3 dst_sel:DWORD dst_unused:UNUSED_PAD src0_sel:DWORD src1_sel:WORD_0
	v_bfe_u32 v3, v3, s5, 16
	s_waitcnt lgkmcnt(0)
	v_add_u16_e32 v11, 1, v9
	v_cndmask_b32_e64 v3, v3, 0, s[0:1]
	ds_write_b16 v10, v11
	v_and_b32_e32 v11, 7, v3
	v_mul_u32_u24_e32 v11, 0xea, v11
	v_lshrrev_b32_e32 v3, 3, v3
	v_add_lshl_u32 v11, v11, v0, 1
	v_cmp_lt_i16_e32 vcc, -1, v4
	v_add_lshl_u32 v11, v11, v3, 1
	v_cndmask_b32_e32 v13, -1, v19, vcc
	ds_read_u16 v3, v11
	v_xor_b32_e32 v13, v13, v4
	v_cmp_ne_u16_e32 vcc, s8, v13
	v_cndmask_b32_e32 v13, v19, v13, vcc
	v_lshlrev_b32_sdwa v13, s4, v13 dst_sel:DWORD dst_unused:UNUSED_PAD src0_sel:DWORD src1_sel:WORD_0
	v_bfe_u32 v13, v13, s5, 16
	s_waitcnt lgkmcnt(0)
	v_add_u16_e32 v14, 1, v3
	v_cndmask_b32_e64 v13, v13, 0, s[0:1]
	ds_write_b16 v11, v14
	v_and_b32_e32 v14, 7, v13
	v_mul_u32_u24_e32 v14, 0xea, v14
	v_lshrrev_b32_e32 v13, 3, v13
	v_add_lshl_u32 v14, v14, v0, 1
	v_cmp_gt_i16_sdwa vcc, v4, v18 src0_sel:WORD_1 src1_sel:DWORD
	v_add_lshl_u32 v14, v14, v13, 1
	v_cndmask_b32_e32 v15, -1, v19, vcc
	ds_read_u16 v13, v14
	v_xor_b32_sdwa v4, v15, v4 dst_sel:DWORD dst_unused:UNUSED_PAD src0_sel:DWORD src1_sel:WORD_1
	v_cmp_ne_u16_e32 vcc, s8, v4
	v_cndmask_b32_e32 v4, v19, v4, vcc
	v_lshlrev_b32_sdwa v4, s4, v4 dst_sel:DWORD dst_unused:UNUSED_PAD src0_sel:DWORD src1_sel:WORD_0
	v_bfe_u32 v4, v4, s5, 16
	s_waitcnt lgkmcnt(0)
	v_add_u16_e32 v15, 1, v13
	v_cndmask_b32_e64 v4, v4, 0, s[0:1]
	ds_write_b16 v14, v15
	v_and_b32_e32 v15, 7, v4
	v_mul_u32_u24_e32 v15, 0xea, v15
	v_lshrrev_b32_e32 v4, 3, v4
	v_add_lshl_u32 v15, v15, v0, 1
	v_cmp_lt_i16_e32 vcc, -1, v5
	v_add_lshl_u32 v15, v15, v4, 1
	v_cndmask_b32_e32 v16, -1, v19, vcc
	ds_read_u16 v4, v15
	v_xor_b32_e32 v16, v16, v5
	v_cmp_ne_u16_e32 vcc, s8, v16
	v_cndmask_b32_e32 v16, v19, v16, vcc
	v_lshlrev_b32_sdwa v16, s4, v16 dst_sel:DWORD dst_unused:UNUSED_PAD src0_sel:DWORD src1_sel:WORD_0
	v_bfe_u32 v16, v16, s5, 16
	s_waitcnt lgkmcnt(0)
	v_add_u16_e32 v17, 1, v4
	v_cndmask_b32_e64 v16, v16, 0, s[0:1]
	ds_write_b16 v15, v17
	v_and_b32_e32 v17, 7, v16
	v_mul_u32_u24_e32 v17, 0xea, v17
	v_lshrrev_b32_e32 v16, 3, v16
	v_add_lshl_u32 v17, v17, v0, 1
	v_cmp_gt_i16_sdwa vcc, v5, v18 src0_sel:WORD_1 src1_sel:DWORD
	v_add_lshl_u32 v17, v17, v16, 1
	v_cndmask_b32_e32 v18, -1, v19, vcc
	ds_read_u16 v16, v17
	v_xor_b32_sdwa v5, v18, v5 dst_sel:DWORD dst_unused:UNUSED_PAD src0_sel:DWORD src1_sel:WORD_1
	v_cmp_ne_u16_e32 vcc, s8, v5
	v_cndmask_b32_e32 v5, v19, v5, vcc
	v_lshlrev_b32_sdwa v5, s4, v5 dst_sel:DWORD dst_unused:UNUSED_PAD src0_sel:DWORD src1_sel:WORD_0
	v_bfe_u32 v5, v5, s5, 16
	s_waitcnt lgkmcnt(0)
	v_add_u16_e32 v18, 1, v16
	v_cndmask_b32_e64 v5, v5, 0, s[0:1]
	s_waitcnt vmcnt(0)
	v_cmp_lt_i16_e32 vcc, -1, v12
	ds_write_b16 v17, v18
	v_and_b32_e32 v18, 7, v5
	v_cndmask_b32_e32 v20, -1, v19, vcc
	v_mul_u32_u24_e32 v18, 0xea, v18
	v_xor_b32_e32 v12, v20, v12
	v_lshrrev_b32_e32 v5, 3, v5
	v_add_lshl_u32 v18, v18, v0, 1
	v_cmp_ne_u16_e32 vcc, s8, v12
	v_add_lshl_u32 v18, v18, v5, 1
	v_cndmask_b32_e32 v12, v19, v12, vcc
	ds_read_u16 v5, v18
	v_lshlrev_b32_sdwa v12, s4, v12 dst_sel:DWORD dst_unused:UNUSED_PAD src0_sel:DWORD src1_sel:WORD_0
	v_bfe_u32 v12, v12, s5, 16
	v_cndmask_b32_e64 v12, v12, 0, s[0:1]
	v_and_b32_e32 v19, 7, v12
	v_mul_u32_u24_e32 v19, 0xea, v19
	s_waitcnt lgkmcnt(0)
	v_add_u16_e32 v20, 1, v5
	v_lshrrev_b32_e32 v12, 3, v12
	v_add_lshl_u32 v19, v19, v0, 1
	ds_write_b16 v18, v20
	v_add_lshl_u32 v19, v19, v12, 1
	ds_read_u16 v12, v19
	s_waitcnt lgkmcnt(0)
	v_add_u16_e32 v20, 1, v12
	ds_write_b16 v19, v20
	v_lshlrev_b32_e32 v20, 5, v0
	s_waitcnt lgkmcnt(0)
	s_barrier
	ds_read2_b32 v[22:23], v20 offset1:1
	ds_read2_b32 v[24:25], v20 offset0:2 offset1:3
	ds_read2_b32 v[26:27], v20 offset0:4 offset1:5
	;; [unrolled: 1-line block ×3, first 2 shown]
	s_waitcnt lgkmcnt(3)
	v_add_u32_e32 v21, v23, v22
	s_waitcnt lgkmcnt(2)
	v_add3_u32 v21, v21, v24, v25
	s_waitcnt lgkmcnt(1)
	v_add3_u32 v21, v21, v26, v27
	;; [unrolled: 2-line block ×3, first 2 shown]
	v_mbcnt_lo_u32_b32 v21, -1, 0
	v_mbcnt_hi_u32_b32 v21, -1, v21
	v_and_b32_e32 v23, 15, v21
	v_mov_b32_dpp v24, v22 row_shr:1 row_mask:0xf bank_mask:0xf
	v_cmp_ne_u32_e32 vcc, 0, v23
	v_cndmask_b32_e32 v24, 0, v24, vcc
	v_add_u32_e32 v22, v24, v22
	v_cmp_lt_u32_e32 vcc, 1, v23
	s_nop 0
	v_mov_b32_dpp v24, v22 row_shr:2 row_mask:0xf bank_mask:0xf
	v_cndmask_b32_e32 v24, 0, v24, vcc
	v_add_u32_e32 v22, v22, v24
	v_cmp_lt_u32_e32 vcc, 3, v23
	s_nop 0
	v_mov_b32_dpp v24, v22 row_shr:4 row_mask:0xf bank_mask:0xf
	;; [unrolled: 5-line block ×3, first 2 shown]
	v_cndmask_b32_e32 v23, 0, v24, vcc
	v_add_u32_e32 v22, v22, v23
	v_bfe_i32 v24, v21, 4, 1
	v_cmp_lt_u32_e32 vcc, 31, v21
	v_mov_b32_dpp v23, v22 row_bcast:15 row_mask:0xf bank_mask:0xf
	v_and_b32_e32 v23, v24, v23
	v_add_u32_e32 v22, v22, v23
	v_and_b32_e32 v24, 0xc0, v0
	v_min_u32_e32 v24, 0xaa, v24
	v_mov_b32_dpp v23, v22 row_bcast:31 row_mask:0xf bank_mask:0xf
	v_cndmask_b32_e32 v23, 0, v23, vcc
	v_add_u32_e32 v22, v22, v23
	v_lshrrev_b32_e32 v23, 6, v0
	v_add_u32_e32 v24, 63, v24
	v_cmp_eq_u32_e32 vcc, v24, v0
	v_lshlrev_b32_e32 v23, 2, v23
	s_and_saveexec_b64 s[0:1], vcc
	s_cbranch_execz .LBB7_8
; %bb.7:
	ds_write_b32 v23, v22 offset:7488
.LBB7_8:
	s_or_b64 exec, exec, s[0:1]
	v_cmp_gt_u32_e32 vcc, 4, v0
	s_waitcnt lgkmcnt(0)
	s_barrier
	s_and_saveexec_b64 s[0:1], vcc
	s_cbranch_execz .LBB7_10
; %bb.9:
	v_lshlrev_b32_e32 v24, 2, v0
	ds_read_b32 v25, v24 offset:7488
	v_and_b32_e32 v26, 3, v21
	v_cmp_ne_u32_e32 vcc, 0, v26
	s_waitcnt lgkmcnt(0)
	v_mov_b32_dpp v27, v25 row_shr:1 row_mask:0xf bank_mask:0xf
	v_cndmask_b32_e32 v27, 0, v27, vcc
	v_add_u32_e32 v25, v27, v25
	v_cmp_lt_u32_e32 vcc, 1, v26
	s_nop 0
	v_mov_b32_dpp v27, v25 row_shr:2 row_mask:0xf bank_mask:0xf
	v_cndmask_b32_e32 v26, 0, v27, vcc
	v_add_u32_e32 v25, v25, v26
	ds_write_b32 v24, v25 offset:7488
.LBB7_10:
	s_or_b64 exec, exec, s[0:1]
	v_cmp_lt_u32_e32 vcc, 63, v0
	v_mov_b32_e32 v0, 0
	v_mov_b32_e32 v24, 0
	s_waitcnt lgkmcnt(0)
	s_barrier
	s_and_saveexec_b64 s[0:1], vcc
	s_cbranch_execz .LBB7_12
; %bb.11:
	ds_read_b32 v24, v23 offset:7484
.LBB7_12:
	s_or_b64 exec, exec, s[0:1]
	v_add_u32_e32 v23, -1, v21
	v_and_b32_e32 v25, 64, v21
	v_cmp_lt_i32_e32 vcc, v23, v25
	v_cndmask_b32_e32 v23, v23, v21, vcc
	s_waitcnt lgkmcnt(0)
	v_add_u32_e32 v22, v24, v22
	v_lshlrev_b32_e32 v23, 2, v23
	ds_bpermute_b32 v22, v23, v22
	ds_read_b32 v0, v0 offset:7500
	v_cmp_eq_u32_e32 vcc, 0, v21
	s_lshl_b64 s[0:1], s[6:7], 2
	s_add_u32 s0, s2, s0
	s_waitcnt lgkmcnt(1)
	v_cndmask_b32_e32 v21, v22, v24, vcc
	ds_read2_b32 v[22:23], v20 offset1:1
	s_waitcnt lgkmcnt(1)
	v_lshl_add_u32 v0, v0, 16, v21
	ds_read2_b32 v[24:25], v20 offset0:2 offset1:3
	ds_read2_b32 v[26:27], v20 offset0:4 offset1:5
	ds_read_b32 v21, v20 offset:24
	s_addc_u32 s1, s3, s1
	s_waitcnt lgkmcnt(3)
	v_add_u32_e32 v22, v0, v22
	ds_write2_b32 v20, v0, v22 offset1:1
	v_add_u32_e32 v0, v23, v22
	s_waitcnt lgkmcnt(3)
	v_add_u32_e32 v22, v24, v0
	ds_write2_b32 v20, v0, v22 offset0:2 offset1:3
	v_add_u32_e32 v0, v25, v22
	s_waitcnt lgkmcnt(3)
	v_add_u32_e32 v22, v26, v0
	ds_write2_b32 v20, v0, v22 offset0:4 offset1:5
	v_add_u32_e32 v0, v27, v22
	s_waitcnt lgkmcnt(3)
	v_add_u32_e32 v21, v21, v0
	ds_write2_b32 v20, v0, v21 offset0:6 offset1:7
	s_waitcnt lgkmcnt(0)
	s_barrier
	ds_read_u16 v0, v7
	ds_read_u16 v7, v8
	;; [unrolled: 1-line block ×8, first 2 shown]
	s_waitcnt lgkmcnt(7)
	v_add_u32_sdwa v0, v0, v1 dst_sel:DWORD dst_unused:UNUSED_PAD src0_sel:DWORD src1_sel:WORD_0
	s_waitcnt lgkmcnt(6)
	v_add_u32_sdwa v1, v7, v2 dst_sel:DWORD dst_unused:UNUSED_PAD src0_sel:DWORD src1_sel:WORD_0
	ds_read_u16 v7, v19
	s_waitcnt lgkmcnt(6)
	v_add_u32_sdwa v2, v8, v9 dst_sel:DWORD dst_unused:UNUSED_PAD src0_sel:DWORD src1_sel:WORD_0
	s_waitcnt lgkmcnt(5)
	v_add_u32_sdwa v3, v10, v3 dst_sel:DWORD dst_unused:UNUSED_PAD src0_sel:DWORD src1_sel:WORD_0
	;; [unrolled: 2-line block ×4, first 2 shown]
	v_lshlrev_b32_e32 v5, 2, v6
	v_add_u32_sdwa v9, v14, v4 dst_sel:DWORD dst_unused:UNUSED_PAD src0_sel:DWORD src1_sel:WORD_0
	v_add_u32_sdwa v10, v15, v16 dst_sel:DWORD dst_unused:UNUSED_PAD src0_sel:DWORD src1_sel:WORD_0
	s_waitcnt lgkmcnt(0)
	v_add_u32_sdwa v4, v7, v12 dst_sel:DWORD dst_unused:UNUSED_PAD src0_sel:DWORD src1_sel:WORD_0
	global_store_dwordx4 v5, v[0:3], s[0:1]
	global_store_dwordx4 v5, v[8:11], s[0:1] offset:16
	global_store_dword v5, v4, s[0:1] offset:32
	s_endpgm
	.section	.rodata,"a",@progbits
	.p2align	6, 0x0
	.amdhsa_kernel _Z11rank_kernelILj234ELj9ELj4ELb0EL18RadixRankAlgorithm0E6__halfEvPKT4_Pijj
		.amdhsa_group_segment_fixed_size 8432
		.amdhsa_private_segment_fixed_size 0
		.amdhsa_kernarg_size 24
		.amdhsa_user_sgpr_count 6
		.amdhsa_user_sgpr_private_segment_buffer 1
		.amdhsa_user_sgpr_dispatch_ptr 0
		.amdhsa_user_sgpr_queue_ptr 0
		.amdhsa_user_sgpr_kernarg_segment_ptr 1
		.amdhsa_user_sgpr_dispatch_id 0
		.amdhsa_user_sgpr_flat_scratch_init 0
		.amdhsa_user_sgpr_kernarg_preload_length 0
		.amdhsa_user_sgpr_kernarg_preload_offset 0
		.amdhsa_user_sgpr_private_segment_size 0
		.amdhsa_uses_dynamic_stack 0
		.amdhsa_system_sgpr_private_segment_wavefront_offset 0
		.amdhsa_system_sgpr_workgroup_id_x 1
		.amdhsa_system_sgpr_workgroup_id_y 0
		.amdhsa_system_sgpr_workgroup_id_z 0
		.amdhsa_system_sgpr_workgroup_info 0
		.amdhsa_system_vgpr_workitem_id 0
		.amdhsa_next_free_vgpr 30
		.amdhsa_next_free_sgpr 13
		.amdhsa_accum_offset 32
		.amdhsa_reserve_vcc 1
		.amdhsa_reserve_flat_scratch 0
		.amdhsa_float_round_mode_32 0
		.amdhsa_float_round_mode_16_64 0
		.amdhsa_float_denorm_mode_32 3
		.amdhsa_float_denorm_mode_16_64 3
		.amdhsa_dx10_clamp 1
		.amdhsa_ieee_mode 1
		.amdhsa_fp16_overflow 0
		.amdhsa_tg_split 0
		.amdhsa_exception_fp_ieee_invalid_op 0
		.amdhsa_exception_fp_denorm_src 0
		.amdhsa_exception_fp_ieee_div_zero 0
		.amdhsa_exception_fp_ieee_overflow 0
		.amdhsa_exception_fp_ieee_underflow 0
		.amdhsa_exception_fp_ieee_inexact 0
		.amdhsa_exception_int_div_zero 0
	.end_amdhsa_kernel
	.section	.text._Z11rank_kernelILj234ELj9ELj4ELb0EL18RadixRankAlgorithm0E6__halfEvPKT4_Pijj,"axG",@progbits,_Z11rank_kernelILj234ELj9ELj4ELb0EL18RadixRankAlgorithm0E6__halfEvPKT4_Pijj,comdat
.Lfunc_end7:
	.size	_Z11rank_kernelILj234ELj9ELj4ELb0EL18RadixRankAlgorithm0E6__halfEvPKT4_Pijj, .Lfunc_end7-_Z11rank_kernelILj234ELj9ELj4ELb0EL18RadixRankAlgorithm0E6__halfEvPKT4_Pijj
                                        ; -- End function
	.section	.AMDGPU.csdata,"",@progbits
; Kernel info:
; codeLenInByte = 2064
; NumSgprs: 17
; NumVgprs: 30
; NumAgprs: 0
; TotalNumVgprs: 30
; ScratchSize: 0
; MemoryBound: 0
; FloatMode: 240
; IeeeMode: 1
; LDSByteSize: 8432 bytes/workgroup (compile time only)
; SGPRBlocks: 2
; VGPRBlocks: 3
; NumSGPRsForWavesPerEU: 17
; NumVGPRsForWavesPerEU: 30
; AccumOffset: 32
; Occupancy: 7
; WaveLimiterHint : 0
; COMPUTE_PGM_RSRC2:SCRATCH_EN: 0
; COMPUTE_PGM_RSRC2:USER_SGPR: 6
; COMPUTE_PGM_RSRC2:TRAP_HANDLER: 0
; COMPUTE_PGM_RSRC2:TGID_X_EN: 1
; COMPUTE_PGM_RSRC2:TGID_Y_EN: 0
; COMPUTE_PGM_RSRC2:TGID_Z_EN: 0
; COMPUTE_PGM_RSRC2:TIDIG_COMP_CNT: 0
; COMPUTE_PGM_RSRC3_GFX90A:ACCUM_OFFSET: 7
; COMPUTE_PGM_RSRC3_GFX90A:TG_SPLIT: 0
	.section	.text._Z11rank_kernelILj100ELj3ELj4ELb0EL18RadixRankAlgorithm0EtEvPKT4_Pijj,"axG",@progbits,_Z11rank_kernelILj100ELj3ELj4ELb0EL18RadixRankAlgorithm0EtEvPKT4_Pijj,comdat
	.protected	_Z11rank_kernelILj100ELj3ELj4ELb0EL18RadixRankAlgorithm0EtEvPKT4_Pijj ; -- Begin function _Z11rank_kernelILj100ELj3ELj4ELb0EL18RadixRankAlgorithm0EtEvPKT4_Pijj
	.globl	_Z11rank_kernelILj100ELj3ELj4ELb0EL18RadixRankAlgorithm0EtEvPKT4_Pijj
	.p2align	8
	.type	_Z11rank_kernelILj100ELj3ELj4ELb0EL18RadixRankAlgorithm0EtEvPKT4_Pijj,@function
_Z11rank_kernelILj100ELj3ELj4ELb0EL18RadixRankAlgorithm0EtEvPKT4_Pijj: ; @_Z11rank_kernelILj100ELj3ELj4ELb0EL18RadixRankAlgorithm0EtEvPKT4_Pijj
; %bb.0:
	s_load_dwordx4 s[0:3], s[4:5], 0x0
	s_mulk_i32 s6, 0x12c
	s_mov_b32 s7, 0
	s_lshl_b64 s[8:9], s[6:7], 1
	v_mul_u32_u24_e32 v6, 3, v0
	s_waitcnt lgkmcnt(0)
	s_add_u32 s0, s0, s8
	s_addc_u32 s1, s1, s9
	v_lshlrev_b32_e32 v1, 1, v6
	global_load_dword v8, v1, s[0:1]
	global_load_ushort v7, v1, s[0:1] offset:4
	s_movk_i32 s0, 0x320
	v_cmp_gt_u32_e32 vcc, s0, v0
	s_and_saveexec_b64 s[8:9], vcc
	s_cbranch_execz .LBB8_7
; %bb.1:
	s_movk_i32 s0, 0x2bc
	v_mov_b32_e32 v1, 0x2bc
	v_cmp_gt_u32_e32 vcc, s0, v0
	v_subb_co_u32_e64 v1, s[0:1], v1, v0, vcc
	s_mov_b32 s0, 0x28f5c29
	v_mul_hi_u32 v1, v1, s0
	v_addc_co_u32_e64 v2, s[0:1], 0, v1, vcc
	v_addc_co_u32_e32 v1, vcc, 2, v1, vcc
	v_and_b32_e32 v9, 14, v1
	v_add_u32_e32 v1, 0x64, v0
	v_mov_b32_e32 v3, v2
	s_mov_b64 s[10:11], 0
	v_mov_b32_e32 v10, 0
	s_mov_b32 s14, s7
	v_pk_mov_b32 v[4:5], v[0:1], v[0:1] op_sel:[0,1]
	s_branch .LBB8_3
.LBB8_2:                                ;   in Loop: Header=BB8_3 Depth=1
	s_or_b64 exec, exec, s[0:1]
	s_add_i32 s14, s14, 2
	v_cmp_eq_u32_e32 vcc, s14, v9
	v_add_u32_e32 v5, 0xc8, v5
	s_or_b64 s[10:11], vcc, s[10:11]
	v_add_u32_e32 v4, 0xc8, v4
	s_andn2_b64 exec, exec, s[10:11]
	s_cbranch_execz .LBB8_7
.LBB8_3:                                ; =>This Inner Loop Header: Depth=1
	s_or_b32 s0, s14, 1
	v_cmp_le_u32_e32 vcc, s0, v3
	v_cmp_le_u32_e64 s[0:1], s14, v2
	s_and_saveexec_b64 s[12:13], s[0:1]
	s_cbranch_execz .LBB8_5
; %bb.4:                                ;   in Loop: Header=BB8_3 Depth=1
	v_lshlrev_b32_e32 v1, 2, v4
	ds_write_b32 v1, v10
.LBB8_5:                                ;   in Loop: Header=BB8_3 Depth=1
	s_or_b64 exec, exec, s[12:13]
	s_and_saveexec_b64 s[0:1], vcc
	s_cbranch_execz .LBB8_2
; %bb.6:                                ;   in Loop: Header=BB8_3 Depth=1
	v_lshlrev_b32_e32 v1, 2, v5
	ds_write_b32 v1, v10
	s_branch .LBB8_2
.LBB8_7:
	s_or_b64 exec, exec, s[8:9]
	s_load_dwordx2 s[0:1], s[4:5], 0x10
	s_waitcnt lgkmcnt(0)
	s_and_b32 s1, s1, 31
	s_cmp_eq_u32 s1, 0
	s_cselect_b64 s[4:5], -1, 0
	s_and_b32 s0, s0, 31
	s_add_i32 s0, s0, s1
	s_sub_i32 s0, 32, s0
	s_sub_i32 s8, 32, s1
	s_waitcnt vmcnt(1)
	v_lshlrev_b32_sdwa v1, s0, v8 dst_sel:DWORD dst_unused:UNUSED_PAD src0_sel:DWORD src1_sel:WORD_0
	v_bfe_u32 v1, v1, s8, 16
	v_cndmask_b32_e64 v1, v1, 0, s[4:5]
	v_and_b32_e32 v2, 7, v1
	v_mul_u32_u24_e32 v2, 0x64, v2
	v_lshrrev_b32_e32 v1, 3, v1
	v_add_lshl_u32 v2, v2, v0, 1
	v_add_lshl_u32 v2, v2, v1, 1
	v_lshlrev_b32_sdwa v3, s0, v8 dst_sel:DWORD dst_unused:UNUSED_PAD src0_sel:DWORD src1_sel:WORD_1
	ds_read_u16 v1, v2
	v_bfe_u32 v3, v3, s8, 16
	v_cndmask_b32_e64 v3, v3, 0, s[4:5]
	v_and_b32_e32 v4, 7, v3
	v_mul_u32_u24_e32 v4, 0x64, v4
	v_lshrrev_b32_e32 v3, 3, v3
	s_waitcnt lgkmcnt(0)
	v_add_u16_e32 v5, 1, v1
	v_add_lshl_u32 v4, v4, v0, 1
	ds_write_b16 v2, v5
	v_add_lshl_u32 v4, v4, v3, 1
	ds_read_u16 v3, v4
	s_waitcnt vmcnt(0)
	v_lshlrev_b32_sdwa v5, s0, v7 dst_sel:DWORD dst_unused:UNUSED_PAD src0_sel:DWORD src1_sel:WORD_0
	v_bfe_u32 v5, v5, s8, 16
	v_cndmask_b32_e64 v5, v5, 0, s[4:5]
	s_waitcnt lgkmcnt(0)
	v_add_u16_e32 v7, 1, v3
	ds_write_b16 v4, v7
	v_and_b32_e32 v7, 7, v5
	v_mul_u32_u24_e32 v7, 0x64, v7
	v_lshrrev_b32_e32 v5, 3, v5
	v_add_lshl_u32 v7, v7, v0, 1
	v_add_lshl_u32 v7, v7, v5, 1
	ds_read_u16 v5, v7
	s_waitcnt lgkmcnt(0)
	v_add_u16_e32 v8, 1, v5
	ds_write_b16 v7, v8
	v_lshlrev_b32_e32 v8, 5, v0
	s_waitcnt lgkmcnt(0)
	s_barrier
	ds_read2_b32 v[10:11], v8 offset1:1
	ds_read2_b32 v[12:13], v8 offset0:2 offset1:3
	ds_read2_b32 v[14:15], v8 offset0:4 offset1:5
	;; [unrolled: 1-line block ×3, first 2 shown]
	s_waitcnt lgkmcnt(3)
	v_add_u32_e32 v9, v11, v10
	s_waitcnt lgkmcnt(2)
	v_add3_u32 v9, v9, v12, v13
	s_waitcnt lgkmcnt(1)
	v_add3_u32 v9, v9, v14, v15
	;; [unrolled: 2-line block ×3, first 2 shown]
	v_mbcnt_lo_u32_b32 v9, -1, 0
	v_mbcnt_hi_u32_b32 v9, -1, v9
	v_and_b32_e32 v11, 15, v9
	v_mov_b32_dpp v12, v10 row_shr:1 row_mask:0xf bank_mask:0xf
	v_cmp_ne_u32_e32 vcc, 0, v11
	v_cndmask_b32_e32 v12, 0, v12, vcc
	v_add_u32_e32 v10, v12, v10
	v_cmp_lt_u32_e32 vcc, 1, v11
	s_nop 0
	v_mov_b32_dpp v12, v10 row_shr:2 row_mask:0xf bank_mask:0xf
	v_cndmask_b32_e32 v12, 0, v12, vcc
	v_add_u32_e32 v10, v10, v12
	v_cmp_lt_u32_e32 vcc, 3, v11
	s_nop 0
	v_mov_b32_dpp v12, v10 row_shr:4 row_mask:0xf bank_mask:0xf
	;; [unrolled: 5-line block ×3, first 2 shown]
	v_cndmask_b32_e32 v11, 0, v12, vcc
	v_add_u32_e32 v10, v10, v11
	v_bfe_i32 v12, v9, 4, 1
	v_cmp_lt_u32_e32 vcc, 31, v9
	v_mov_b32_dpp v11, v10 row_bcast:15 row_mask:0xf bank_mask:0xf
	v_and_b32_e32 v11, v12, v11
	v_add_u32_e32 v10, v10, v11
	v_and_b32_e32 v12, 64, v0
	v_min_u32_e32 v12, 36, v12
	v_mov_b32_dpp v11, v10 row_bcast:31 row_mask:0xf bank_mask:0xf
	v_cndmask_b32_e32 v11, 0, v11, vcc
	v_add_u32_e32 v10, v10, v11
	v_lshrrev_b32_e32 v11, 6, v0
	v_add_u32_e32 v12, 63, v12
	v_cmp_eq_u32_e32 vcc, v12, v0
	v_lshlrev_b32_e32 v11, 2, v11
	s_and_saveexec_b64 s[0:1], vcc
	s_cbranch_execz .LBB8_9
; %bb.8:
	ds_write_b32 v11, v10 offset:3200
.LBB8_9:
	s_or_b64 exec, exec, s[0:1]
	v_cmp_gt_u32_e32 vcc, 2, v0
	s_waitcnt lgkmcnt(0)
	s_barrier
	s_and_saveexec_b64 s[0:1], vcc
	s_cbranch_execz .LBB8_11
; %bb.10:
	v_lshlrev_b32_e32 v12, 2, v0
	ds_read_b32 v13, v12 offset:3200
	v_bfe_i32 v14, v9, 0, 1
	s_waitcnt lgkmcnt(0)
	v_mov_b32_dpp v15, v13 row_shr:1 row_mask:0xf bank_mask:0xf
	v_and_b32_e32 v14, v14, v15
	v_add_u32_e32 v13, v14, v13
	ds_write_b32 v12, v13 offset:3200
.LBB8_11:
	s_or_b64 exec, exec, s[0:1]
	v_cmp_lt_u32_e32 vcc, 63, v0
	v_mov_b32_e32 v0, 0
	v_mov_b32_e32 v12, 0
	s_waitcnt lgkmcnt(0)
	s_barrier
	s_and_saveexec_b64 s[0:1], vcc
	s_cbranch_execz .LBB8_13
; %bb.12:
	ds_read_b32 v12, v11 offset:3196
.LBB8_13:
	s_or_b64 exec, exec, s[0:1]
	v_add_u32_e32 v11, -1, v9
	v_and_b32_e32 v13, 64, v9
	v_cmp_lt_i32_e32 vcc, v11, v13
	v_cndmask_b32_e32 v11, v11, v9, vcc
	s_waitcnt lgkmcnt(0)
	v_add_u32_e32 v10, v12, v10
	v_lshlrev_b32_e32 v11, 2, v11
	ds_bpermute_b32 v10, v11, v10
	ds_read_b32 v0, v0 offset:3204
	v_cmp_eq_u32_e32 vcc, 0, v9
	s_lshl_b64 s[0:1], s[6:7], 2
	s_add_u32 s0, s2, s0
	s_waitcnt lgkmcnt(1)
	v_cndmask_b32_e32 v9, v10, v12, vcc
	ds_read2_b32 v[10:11], v8 offset1:1
	s_waitcnt lgkmcnt(1)
	v_lshl_add_u32 v0, v0, 16, v9
	ds_read2_b32 v[12:13], v8 offset0:2 offset1:3
	ds_read2_b32 v[14:15], v8 offset0:4 offset1:5
	ds_read_b32 v9, v8 offset:24
	s_addc_u32 s1, s3, s1
	s_waitcnt lgkmcnt(3)
	v_add_u32_e32 v10, v0, v10
	ds_write2_b32 v8, v0, v10 offset1:1
	v_add_u32_e32 v0, v11, v10
	s_waitcnt lgkmcnt(3)
	v_add_u32_e32 v10, v12, v0
	ds_write2_b32 v8, v0, v10 offset0:2 offset1:3
	v_add_u32_e32 v0, v13, v10
	s_waitcnt lgkmcnt(3)
	v_add_u32_e32 v10, v14, v0
	ds_write2_b32 v8, v0, v10 offset0:4 offset1:5
	;; [unrolled: 4-line block ×3, first 2 shown]
	s_waitcnt lgkmcnt(0)
	s_barrier
	ds_read_u16 v0, v2
	ds_read_u16 v2, v4
	;; [unrolled: 1-line block ×3, first 2 shown]
	s_waitcnt lgkmcnt(2)
	v_add_u32_sdwa v0, v0, v1 dst_sel:DWORD dst_unused:UNUSED_PAD src0_sel:DWORD src1_sel:WORD_0
	s_waitcnt lgkmcnt(1)
	v_add_u32_sdwa v1, v2, v3 dst_sel:DWORD dst_unused:UNUSED_PAD src0_sel:DWORD src1_sel:WORD_0
	;; [unrolled: 2-line block ×3, first 2 shown]
	v_lshlrev_b32_e32 v3, 2, v6
	global_store_dwordx3 v3, v[0:2], s[0:1]
	s_endpgm
	.section	.rodata,"a",@progbits
	.p2align	6, 0x0
	.amdhsa_kernel _Z11rank_kernelILj100ELj3ELj4ELb0EL18RadixRankAlgorithm0EtEvPKT4_Pijj
		.amdhsa_group_segment_fixed_size 3216
		.amdhsa_private_segment_fixed_size 0
		.amdhsa_kernarg_size 24
		.amdhsa_user_sgpr_count 6
		.amdhsa_user_sgpr_private_segment_buffer 1
		.amdhsa_user_sgpr_dispatch_ptr 0
		.amdhsa_user_sgpr_queue_ptr 0
		.amdhsa_user_sgpr_kernarg_segment_ptr 1
		.amdhsa_user_sgpr_dispatch_id 0
		.amdhsa_user_sgpr_flat_scratch_init 0
		.amdhsa_user_sgpr_kernarg_preload_length 0
		.amdhsa_user_sgpr_kernarg_preload_offset 0
		.amdhsa_user_sgpr_private_segment_size 0
		.amdhsa_uses_dynamic_stack 0
		.amdhsa_system_sgpr_private_segment_wavefront_offset 0
		.amdhsa_system_sgpr_workgroup_id_x 1
		.amdhsa_system_sgpr_workgroup_id_y 0
		.amdhsa_system_sgpr_workgroup_id_z 0
		.amdhsa_system_sgpr_workgroup_info 0
		.amdhsa_system_vgpr_workitem_id 0
		.amdhsa_next_free_vgpr 18
		.amdhsa_next_free_sgpr 15
		.amdhsa_accum_offset 20
		.amdhsa_reserve_vcc 1
		.amdhsa_reserve_flat_scratch 0
		.amdhsa_float_round_mode_32 0
		.amdhsa_float_round_mode_16_64 0
		.amdhsa_float_denorm_mode_32 3
		.amdhsa_float_denorm_mode_16_64 3
		.amdhsa_dx10_clamp 1
		.amdhsa_ieee_mode 1
		.amdhsa_fp16_overflow 0
		.amdhsa_tg_split 0
		.amdhsa_exception_fp_ieee_invalid_op 0
		.amdhsa_exception_fp_denorm_src 0
		.amdhsa_exception_fp_ieee_div_zero 0
		.amdhsa_exception_fp_ieee_overflow 0
		.amdhsa_exception_fp_ieee_underflow 0
		.amdhsa_exception_fp_ieee_inexact 0
		.amdhsa_exception_int_div_zero 0
	.end_amdhsa_kernel
	.section	.text._Z11rank_kernelILj100ELj3ELj4ELb0EL18RadixRankAlgorithm0EtEvPKT4_Pijj,"axG",@progbits,_Z11rank_kernelILj100ELj3ELj4ELb0EL18RadixRankAlgorithm0EtEvPKT4_Pijj,comdat
.Lfunc_end8:
	.size	_Z11rank_kernelILj100ELj3ELj4ELb0EL18RadixRankAlgorithm0EtEvPKT4_Pijj, .Lfunc_end8-_Z11rank_kernelILj100ELj3ELj4ELb0EL18RadixRankAlgorithm0EtEvPKT4_Pijj
                                        ; -- End function
	.section	.AMDGPU.csdata,"",@progbits
; Kernel info:
; codeLenInByte = 1232
; NumSgprs: 19
; NumVgprs: 18
; NumAgprs: 0
; TotalNumVgprs: 18
; ScratchSize: 0
; MemoryBound: 0
; FloatMode: 240
; IeeeMode: 1
; LDSByteSize: 3216 bytes/workgroup (compile time only)
; SGPRBlocks: 2
; VGPRBlocks: 2
; NumSGPRsForWavesPerEU: 19
; NumVGPRsForWavesPerEU: 18
; AccumOffset: 20
; Occupancy: 8
; WaveLimiterHint : 0
; COMPUTE_PGM_RSRC2:SCRATCH_EN: 0
; COMPUTE_PGM_RSRC2:USER_SGPR: 6
; COMPUTE_PGM_RSRC2:TRAP_HANDLER: 0
; COMPUTE_PGM_RSRC2:TGID_X_EN: 1
; COMPUTE_PGM_RSRC2:TGID_Y_EN: 0
; COMPUTE_PGM_RSRC2:TGID_Z_EN: 0
; COMPUTE_PGM_RSRC2:TIDIG_COMP_CNT: 0
; COMPUTE_PGM_RSRC3_GFX90A:ACCUM_OFFSET: 4
; COMPUTE_PGM_RSRC3_GFX90A:TG_SPLIT: 0
	.section	.text._Z11rank_kernelILj464ELj2ELj4ELb1EL18RadixRankAlgorithm0EcEvPKT4_Pijj,"axG",@progbits,_Z11rank_kernelILj464ELj2ELj4ELb1EL18RadixRankAlgorithm0EcEvPKT4_Pijj,comdat
	.protected	_Z11rank_kernelILj464ELj2ELj4ELb1EL18RadixRankAlgorithm0EcEvPKT4_Pijj ; -- Begin function _Z11rank_kernelILj464ELj2ELj4ELb1EL18RadixRankAlgorithm0EcEvPKT4_Pijj
	.globl	_Z11rank_kernelILj464ELj2ELj4ELb1EL18RadixRankAlgorithm0EcEvPKT4_Pijj
	.p2align	8
	.type	_Z11rank_kernelILj464ELj2ELj4ELb1EL18RadixRankAlgorithm0EcEvPKT4_Pijj,@function
_Z11rank_kernelILj464ELj2ELj4ELb1EL18RadixRankAlgorithm0EcEvPKT4_Pijj: ; @_Z11rank_kernelILj464ELj2ELj4ELb1EL18RadixRankAlgorithm0EcEvPKT4_Pijj
; %bb.0:
	s_load_dwordx4 s[0:3], s[4:5], 0x0
	s_mulk_i32 s6, 0x3a0
	v_lshlrev_b32_e32 v2, 1, v0
	v_sub_u32_e32 v1, 0xcaf, v0
	v_mul_hi_u32_u24_e32 v1, 0x8d3dcc, v1
	s_waitcnt lgkmcnt(0)
	s_add_u32 s0, s0, s6
	s_addc_u32 s1, s1, 0
	global_load_ushort v5, v2, s[0:1]
	s_mov_b32 s7, 0
	v_add_u32_e32 v3, 3, v1
	v_add_u32_e32 v4, 1, v1
	;; [unrolled: 1-line block ×3, first 2 shown]
	v_mov_b32_e32 v8, 0
	v_and_b32_e32 v9, 30, v3
	v_mov_b32_e32 v3, v4
	s_mov_b64 s[8:9], 0
	s_mov_b32 s12, s7
	v_pk_mov_b32 v[6:7], v[0:1], v[0:1] op_sel:[0,1]
	s_branch .LBB9_2
.LBB9_1:                                ;   in Loop: Header=BB9_2 Depth=1
	s_or_b64 exec, exec, s[0:1]
	s_add_i32 s12, s12, 2
	v_cmp_eq_u32_e32 vcc, s12, v9
	v_add_u32_e32 v7, 0x3a0, v7
	s_or_b64 s[8:9], vcc, s[8:9]
	v_add_u32_e32 v6, 0x3a0, v6
	s_andn2_b64 exec, exec, s[8:9]
	s_cbranch_execz .LBB9_6
.LBB9_2:                                ; =>This Inner Loop Header: Depth=1
	s_or_b32 s0, s12, 1
	v_cmp_le_u32_e32 vcc, s0, v3
	v_cmp_le_u32_e64 s[0:1], s12, v4
	s_and_saveexec_b64 s[10:11], s[0:1]
	s_cbranch_execz .LBB9_4
; %bb.3:                                ;   in Loop: Header=BB9_2 Depth=1
	v_lshlrev_b32_e32 v1, 2, v6
	ds_write_b32 v1, v8
.LBB9_4:                                ;   in Loop: Header=BB9_2 Depth=1
	s_or_b64 exec, exec, s[10:11]
	s_and_saveexec_b64 s[0:1], vcc
	s_cbranch_execz .LBB9_1
; %bb.5:                                ;   in Loop: Header=BB9_2 Depth=1
	v_lshlrev_b32_e32 v1, 2, v7
	ds_write_b32 v1, v8
	s_branch .LBB9_1
.LBB9_6:
	s_or_b64 exec, exec, s[8:9]
	s_load_dwordx2 s[0:1], s[4:5], 0x10
	s_waitcnt vmcnt(0)
	v_xor_b32_e32 v1, 0x80, v5
	s_waitcnt lgkmcnt(0)
	s_and_b32 s1, s1, 31
	s_cmp_eq_u32 s1, 0
	s_cselect_b64 s[4:5], -1, 0
	s_and_b32 s0, s0, 31
	s_add_i32 s0, s0, s1
	s_sub_i32 s0, 32, s0
	s_sub_i32 s8, 32, s1
	v_lshlrev_b32_sdwa v1, s0, v1 dst_sel:DWORD dst_unused:UNUSED_PAD src0_sel:DWORD src1_sel:BYTE_0
	v_bfe_u32 v1, v1, s8, 8
	v_xor_b32_e32 v1, 15, v1
	v_cndmask_b32_e64 v1, v1, 15, s[4:5]
	v_and_b32_e32 v3, 7, v1
	v_mul_u32_u24_e32 v3, 0x1d0, v3
	v_lshrrev_b32_e32 v1, 3, v1
	v_add_lshl_u32 v3, v3, v0, 1
	v_add_lshl_u32 v3, v3, v1, 1
	ds_read_u16 v1, v3
	s_movk_i32 s1, 0x80
	v_xor_b32_sdwa v4, v5, s1 dst_sel:DWORD dst_unused:UNUSED_PAD src0_sel:BYTE_1 src1_sel:DWORD
	v_lshlrev_b32_sdwa v4, s0, v4 dst_sel:DWORD dst_unused:UNUSED_PAD src0_sel:DWORD src1_sel:WORD_0
	v_bfe_u32 v4, v4, s8, 8
	v_xor_b32_e32 v4, 15, v4
	s_waitcnt lgkmcnt(0)
	v_add_u16_e32 v5, 1, v1
	v_cndmask_b32_e64 v4, v4, 15, s[4:5]
	ds_write_b16 v3, v5
	v_and_b32_e32 v5, 7, v4
	v_mul_u32_u24_e32 v5, 0x1d0, v5
	v_lshrrev_b32_e32 v4, 3, v4
	v_add_lshl_u32 v5, v5, v0, 1
	v_add_lshl_u32 v5, v5, v4, 1
	ds_read_u16 v4, v5
	s_waitcnt lgkmcnt(0)
	v_add_u16_e32 v6, 1, v4
	ds_write_b16 v5, v6
	v_lshlrev_b32_e32 v6, 5, v0
	s_waitcnt lgkmcnt(0)
	s_barrier
	ds_read2_b32 v[8:9], v6 offset1:1
	ds_read2_b32 v[10:11], v6 offset0:2 offset1:3
	ds_read2_b32 v[12:13], v6 offset0:4 offset1:5
	;; [unrolled: 1-line block ×3, first 2 shown]
	s_waitcnt lgkmcnt(3)
	v_add_u32_e32 v7, v9, v8
	s_waitcnt lgkmcnt(2)
	v_add3_u32 v7, v7, v10, v11
	s_waitcnt lgkmcnt(1)
	v_add3_u32 v7, v7, v12, v13
	;; [unrolled: 2-line block ×3, first 2 shown]
	v_mbcnt_lo_u32_b32 v7, -1, 0
	v_mbcnt_hi_u32_b32 v7, -1, v7
	v_and_b32_e32 v9, 15, v7
	v_mov_b32_dpp v10, v8 row_shr:1 row_mask:0xf bank_mask:0xf
	v_cmp_ne_u32_e32 vcc, 0, v9
	v_cndmask_b32_e32 v10, 0, v10, vcc
	v_add_u32_e32 v8, v10, v8
	v_cmp_lt_u32_e32 vcc, 1, v9
	s_nop 0
	v_mov_b32_dpp v10, v8 row_shr:2 row_mask:0xf bank_mask:0xf
	v_cndmask_b32_e32 v10, 0, v10, vcc
	v_add_u32_e32 v8, v8, v10
	v_cmp_lt_u32_e32 vcc, 3, v9
	s_nop 0
	v_mov_b32_dpp v10, v8 row_shr:4 row_mask:0xf bank_mask:0xf
	;; [unrolled: 5-line block ×3, first 2 shown]
	v_cndmask_b32_e32 v9, 0, v10, vcc
	v_add_u32_e32 v8, v8, v9
	v_bfe_i32 v10, v7, 4, 1
	v_cmp_lt_u32_e32 vcc, 31, v7
	v_mov_b32_dpp v9, v8 row_bcast:15 row_mask:0xf bank_mask:0xf
	v_and_b32_e32 v9, v10, v9
	v_add_u32_e32 v8, v8, v9
	v_and_b32_e32 v10, 0x1c0, v0
	v_min_u32_e32 v10, 0x190, v10
	v_mov_b32_dpp v9, v8 row_bcast:31 row_mask:0xf bank_mask:0xf
	v_cndmask_b32_e32 v9, 0, v9, vcc
	v_add_u32_e32 v8, v8, v9
	v_lshrrev_b32_e32 v9, 6, v0
	v_add_u32_e32 v10, 63, v10
	v_cmp_eq_u32_e32 vcc, v10, v0
	v_lshlrev_b32_e32 v9, 2, v9
	s_and_saveexec_b64 s[0:1], vcc
	s_cbranch_execz .LBB9_8
; %bb.7:
	ds_write_b32 v9, v8 offset:14848
.LBB9_8:
	s_or_b64 exec, exec, s[0:1]
	v_cmp_gt_u32_e32 vcc, 8, v0
	s_waitcnt lgkmcnt(0)
	s_barrier
	s_and_saveexec_b64 s[0:1], vcc
	s_cbranch_execz .LBB9_10
; %bb.9:
	v_lshlrev_b32_e32 v10, 2, v0
	ds_read_b32 v11, v10 offset:14848
	v_and_b32_e32 v12, 7, v7
	v_cmp_ne_u32_e32 vcc, 0, v12
	s_waitcnt lgkmcnt(0)
	v_mov_b32_dpp v13, v11 row_shr:1 row_mask:0xf bank_mask:0xf
	v_cndmask_b32_e32 v13, 0, v13, vcc
	v_add_u32_e32 v11, v13, v11
	v_cmp_lt_u32_e32 vcc, 1, v12
	s_nop 0
	v_mov_b32_dpp v13, v11 row_shr:2 row_mask:0xf bank_mask:0xf
	v_cndmask_b32_e32 v13, 0, v13, vcc
	v_add_u32_e32 v11, v11, v13
	v_cmp_lt_u32_e32 vcc, 3, v12
	s_nop 0
	v_mov_b32_dpp v13, v11 row_shr:4 row_mask:0xf bank_mask:0xf
	v_cndmask_b32_e32 v12, 0, v13, vcc
	v_add_u32_e32 v11, v11, v12
	ds_write_b32 v10, v11 offset:14848
.LBB9_10:
	s_or_b64 exec, exec, s[0:1]
	v_cmp_lt_u32_e32 vcc, 63, v0
	v_mov_b32_e32 v0, 0
	v_mov_b32_e32 v10, 0
	s_waitcnt lgkmcnt(0)
	s_barrier
	s_and_saveexec_b64 s[0:1], vcc
	s_cbranch_execz .LBB9_12
; %bb.11:
	ds_read_b32 v10, v9 offset:14844
.LBB9_12:
	s_or_b64 exec, exec, s[0:1]
	v_add_u32_e32 v9, -1, v7
	v_and_b32_e32 v11, 64, v7
	v_cmp_lt_i32_e32 vcc, v9, v11
	v_cndmask_b32_e32 v9, v9, v7, vcc
	s_waitcnt lgkmcnt(0)
	v_add_u32_e32 v8, v10, v8
	v_lshlrev_b32_e32 v9, 2, v9
	ds_bpermute_b32 v8, v9, v8
	ds_read_b32 v0, v0 offset:14876
	v_cmp_eq_u32_e32 vcc, 0, v7
	s_lshl_b64 s[0:1], s[6:7], 2
	s_add_u32 s0, s2, s0
	s_waitcnt lgkmcnt(1)
	v_cndmask_b32_e32 v7, v8, v10, vcc
	ds_read2_b32 v[8:9], v6 offset1:1
	s_waitcnt lgkmcnt(1)
	v_lshl_add_u32 v0, v0, 16, v7
	ds_read2_b32 v[10:11], v6 offset0:2 offset1:3
	ds_read2_b32 v[12:13], v6 offset0:4 offset1:5
	ds_read_b32 v7, v6 offset:24
	s_addc_u32 s1, s3, s1
	v_lshlrev_b32_e32 v2, 2, v2
	s_waitcnt lgkmcnt(3)
	v_add_u32_e32 v8, v0, v8
	ds_write2_b32 v6, v0, v8 offset1:1
	v_add_u32_e32 v0, v9, v8
	s_waitcnt lgkmcnt(3)
	v_add_u32_e32 v8, v10, v0
	ds_write2_b32 v6, v0, v8 offset0:2 offset1:3
	v_add_u32_e32 v0, v11, v8
	s_waitcnt lgkmcnt(3)
	v_add_u32_e32 v8, v12, v0
	ds_write2_b32 v6, v0, v8 offset0:4 offset1:5
	;; [unrolled: 4-line block ×3, first 2 shown]
	s_waitcnt lgkmcnt(0)
	s_barrier
	ds_read_u16 v0, v3
	ds_read_u16 v3, v5
	s_waitcnt lgkmcnt(1)
	v_add_u32_sdwa v0, v0, v1 dst_sel:DWORD dst_unused:UNUSED_PAD src0_sel:DWORD src1_sel:WORD_0
	s_waitcnt lgkmcnt(0)
	v_add_u32_sdwa v1, v3, v4 dst_sel:DWORD dst_unused:UNUSED_PAD src0_sel:DWORD src1_sel:WORD_0
	global_store_dwordx2 v2, v[0:1], s[0:1]
	s_endpgm
	.section	.rodata,"a",@progbits
	.p2align	6, 0x0
	.amdhsa_kernel _Z11rank_kernelILj464ELj2ELj4ELb1EL18RadixRankAlgorithm0EcEvPKT4_Pijj
		.amdhsa_group_segment_fixed_size 14880
		.amdhsa_private_segment_fixed_size 0
		.amdhsa_kernarg_size 24
		.amdhsa_user_sgpr_count 6
		.amdhsa_user_sgpr_private_segment_buffer 1
		.amdhsa_user_sgpr_dispatch_ptr 0
		.amdhsa_user_sgpr_queue_ptr 0
		.amdhsa_user_sgpr_kernarg_segment_ptr 1
		.amdhsa_user_sgpr_dispatch_id 0
		.amdhsa_user_sgpr_flat_scratch_init 0
		.amdhsa_user_sgpr_kernarg_preload_length 0
		.amdhsa_user_sgpr_kernarg_preload_offset 0
		.amdhsa_user_sgpr_private_segment_size 0
		.amdhsa_uses_dynamic_stack 0
		.amdhsa_system_sgpr_private_segment_wavefront_offset 0
		.amdhsa_system_sgpr_workgroup_id_x 1
		.amdhsa_system_sgpr_workgroup_id_y 0
		.amdhsa_system_sgpr_workgroup_id_z 0
		.amdhsa_system_sgpr_workgroup_info 0
		.amdhsa_system_vgpr_workitem_id 0
		.amdhsa_next_free_vgpr 16
		.amdhsa_next_free_sgpr 13
		.amdhsa_accum_offset 16
		.amdhsa_reserve_vcc 1
		.amdhsa_reserve_flat_scratch 0
		.amdhsa_float_round_mode_32 0
		.amdhsa_float_round_mode_16_64 0
		.amdhsa_float_denorm_mode_32 3
		.amdhsa_float_denorm_mode_16_64 3
		.amdhsa_dx10_clamp 1
		.amdhsa_ieee_mode 1
		.amdhsa_fp16_overflow 0
		.amdhsa_tg_split 0
		.amdhsa_exception_fp_ieee_invalid_op 0
		.amdhsa_exception_fp_denorm_src 0
		.amdhsa_exception_fp_ieee_div_zero 0
		.amdhsa_exception_fp_ieee_overflow 0
		.amdhsa_exception_fp_ieee_underflow 0
		.amdhsa_exception_fp_ieee_inexact 0
		.amdhsa_exception_int_div_zero 0
	.end_amdhsa_kernel
	.section	.text._Z11rank_kernelILj464ELj2ELj4ELb1EL18RadixRankAlgorithm0EcEvPKT4_Pijj,"axG",@progbits,_Z11rank_kernelILj464ELj2ELj4ELb1EL18RadixRankAlgorithm0EcEvPKT4_Pijj,comdat
.Lfunc_end9:
	.size	_Z11rank_kernelILj464ELj2ELj4ELb1EL18RadixRankAlgorithm0EcEvPKT4_Pijj, .Lfunc_end9-_Z11rank_kernelILj464ELj2ELj4ELb1EL18RadixRankAlgorithm0EcEvPKT4_Pijj
                                        ; -- End function
	.section	.AMDGPU.csdata,"",@progbits
; Kernel info:
; codeLenInByte = 1152
; NumSgprs: 17
; NumVgprs: 16
; NumAgprs: 0
; TotalNumVgprs: 16
; ScratchSize: 0
; MemoryBound: 0
; FloatMode: 240
; IeeeMode: 1
; LDSByteSize: 14880 bytes/workgroup (compile time only)
; SGPRBlocks: 2
; VGPRBlocks: 1
; NumSGPRsForWavesPerEU: 17
; NumVGPRsForWavesPerEU: 16
; AccumOffset: 16
; Occupancy: 8
; WaveLimiterHint : 0
; COMPUTE_PGM_RSRC2:SCRATCH_EN: 0
; COMPUTE_PGM_RSRC2:USER_SGPR: 6
; COMPUTE_PGM_RSRC2:TRAP_HANDLER: 0
; COMPUTE_PGM_RSRC2:TGID_X_EN: 1
; COMPUTE_PGM_RSRC2:TGID_Y_EN: 0
; COMPUTE_PGM_RSRC2:TGID_Z_EN: 0
; COMPUTE_PGM_RSRC2:TIDIG_COMP_CNT: 0
; COMPUTE_PGM_RSRC3_GFX90A:ACCUM_OFFSET: 3
; COMPUTE_PGM_RSRC3_GFX90A:TG_SPLIT: 0
	.section	.text._Z11rank_kernelILj33ELj5ELj4ELb0EL18RadixRankAlgorithm0EdEvPKT4_Pijj,"axG",@progbits,_Z11rank_kernelILj33ELj5ELj4ELb0EL18RadixRankAlgorithm0EdEvPKT4_Pijj,comdat
	.protected	_Z11rank_kernelILj33ELj5ELj4ELb0EL18RadixRankAlgorithm0EdEvPKT4_Pijj ; -- Begin function _Z11rank_kernelILj33ELj5ELj4ELb0EL18RadixRankAlgorithm0EdEvPKT4_Pijj
	.globl	_Z11rank_kernelILj33ELj5ELj4ELb0EL18RadixRankAlgorithm0EdEvPKT4_Pijj
	.p2align	8
	.type	_Z11rank_kernelILj33ELj5ELj4ELb0EL18RadixRankAlgorithm0EdEvPKT4_Pijj,@function
_Z11rank_kernelILj33ELj5ELj4ELb0EL18RadixRankAlgorithm0EdEvPKT4_Pijj: ; @_Z11rank_kernelILj33ELj5ELj4ELb0EL18RadixRankAlgorithm0EdEvPKT4_Pijj
; %bb.0:
	s_load_dwordx4 s[0:3], s[4:5], 0x0
	s_mulk_i32 s6, 0xa5
	s_mov_b32 s7, 0
	s_lshl_b64 s[8:9], s[6:7], 3
	v_mul_u32_u24_e32 v16, 5, v0
	s_waitcnt lgkmcnt(0)
	s_add_u32 s0, s0, s8
	s_addc_u32 s1, s1, s9
	v_lshlrev_b32_e32 v1, 3, v16
	global_load_dwordx2 v[10:11], v1, s[0:1] offset:32
	global_load_dwordx4 v[2:5], v1, s[0:1] offset:16
	global_load_dwordx4 v[6:9], v1, s[0:1]
	s_movk_i32 s0, 0x108
	v_cmp_gt_u32_e32 vcc, s0, v0
	s_and_saveexec_b64 s[8:9], vcc
	s_cbranch_execz .LBB10_7
; %bb.1:
	s_movk_i32 s0, 0xe7
	v_mov_b32_e32 v1, 0xe7
	v_cmp_gt_u32_e32 vcc, s0, v0
	v_subb_co_u32_e64 v1, s[0:1], v1, v0, vcc
	s_mov_b32 s0, 0x7c1f07d
	v_mul_hi_u32 v1, v1, s0
	v_addc_co_u32_e64 v12, s[0:1], 0, v1, vcc
	v_addc_co_u32_e32 v1, vcc, 2, v1, vcc
	v_and_b32_e32 v17, 14, v1
	v_add_u32_e32 v1, 33, v0
	v_mov_b32_e32 v13, v12
	s_mov_b64 s[10:11], 0
	v_mov_b32_e32 v18, 0
	s_mov_b32 s14, s7
	v_pk_mov_b32 v[14:15], v[0:1], v[0:1] op_sel:[0,1]
	s_branch .LBB10_3
.LBB10_2:                               ;   in Loop: Header=BB10_3 Depth=1
	s_or_b64 exec, exec, s[0:1]
	s_add_i32 s14, s14, 2
	v_cmp_eq_u32_e32 vcc, s14, v17
	v_add_u32_e32 v15, 0x42, v15
	s_or_b64 s[10:11], vcc, s[10:11]
	v_add_u32_e32 v14, 0x42, v14
	s_andn2_b64 exec, exec, s[10:11]
	s_cbranch_execz .LBB10_7
.LBB10_3:                               ; =>This Inner Loop Header: Depth=1
	s_or_b32 s0, s14, 1
	v_cmp_le_u32_e32 vcc, s0, v13
	v_cmp_le_u32_e64 s[0:1], s14, v12
	s_and_saveexec_b64 s[12:13], s[0:1]
	s_cbranch_execz .LBB10_5
; %bb.4:                                ;   in Loop: Header=BB10_3 Depth=1
	v_lshlrev_b32_e32 v1, 2, v14
	ds_write_b32 v1, v18
.LBB10_5:                               ;   in Loop: Header=BB10_3 Depth=1
	s_or_b64 exec, exec, s[12:13]
	s_and_saveexec_b64 s[0:1], vcc
	s_cbranch_execz .LBB10_2
; %bb.6:                                ;   in Loop: Header=BB10_3 Depth=1
	v_lshlrev_b32_e32 v1, 2, v15
	ds_write_b32 v1, v18
	s_branch .LBB10_2
.LBB10_7:
	s_or_b64 exec, exec, s[8:9]
	s_load_dwordx2 s[4:5], s[4:5], 0x10
	v_mov_b32_e32 v12, 0
	v_mov_b32_e32 v14, 0
	s_waitcnt lgkmcnt(0)
	s_and_b32 s10, s5, 63
	s_cmp_lg_u32 s10, 0
	s_cselect_b64 s[8:9], -1, 0
	s_sub_u32 s5, 64, s10
	s_and_b64 vcc, exec, s[8:9]
	s_cbranch_vccz .LBB10_9
; %bb.8:
	v_bfrev_b32_e32 v1, 1
	s_waitcnt vmcnt(0)
	v_cmp_lt_i64_e32 vcc, -1, v[6:7]
	s_mov_b32 s0, -1
	v_cndmask_b32_e32 v13, -1, v1, vcc
	v_ashrrev_i32_e32 v14, 31, v7
	s_brev_b32 s1, -2
	v_xor_b32_e32 v7, v13, v7
	v_xor_b32_e32 v6, v14, v6
	v_cmp_ne_u64_e32 vcc, s[0:1], v[6:7]
	s_and_b32 s0, s4, 63
	s_add_i32 s0, s0, s10
	v_cndmask_b32_e32 v7, v1, v7, vcc
	v_cndmask_b32_e32 v6, 0, v6, vcc
	s_sub_i32 s0, 64, s0
	v_lshlrev_b64 v[6:7], s0, v[6:7]
	v_lshrrev_b64 v[14:15], s5, v[6:7]
.LBB10_9:
	v_and_b32_e32 v1, 7, v14
	v_mul_u32_u24_e32 v1, 33, v1
	s_waitcnt vmcnt(0)
	v_lshrrev_b32_e32 v6, 3, v14
	v_add_lshl_u32 v1, v1, v0, 1
	v_add_lshl_u32 v14, v1, v6, 1
	ds_read_u16 v1, v14
	v_cndmask_b32_e64 v6, 0, 1, s[8:9]
	v_cmp_ne_u32_e64 s[0:1], 1, v6
	s_andn2_b64 vcc, exec, s[8:9]
	s_waitcnt lgkmcnt(0)
	v_add_u16_e32 v6, 1, v1
	ds_write_b16 v14, v6
	v_mov_b32_e32 v6, 0
	s_cbranch_vccnz .LBB10_11
; %bb.10:
	v_bfrev_b32_e32 v13, 1
	v_cmp_lt_i64_e32 vcc, -1, v[8:9]
	s_mov_b32 s8, -1
	v_cndmask_b32_e32 v6, -1, v13, vcc
	v_ashrrev_i32_e32 v15, 31, v9
	s_brev_b32 s9, -2
	v_xor_b32_e32 v7, v6, v9
	v_xor_b32_e32 v6, v15, v8
	v_cmp_ne_u64_e32 vcc, s[8:9], v[6:7]
	s_and_b32 s8, s4, 63
	s_add_i32 s8, s8, s10
	v_cndmask_b32_e32 v7, v13, v7, vcc
	v_cndmask_b32_e32 v6, 0, v6, vcc
	s_sub_i32 s8, 64, s8
	v_lshlrev_b64 v[6:7], s8, v[6:7]
	v_lshrrev_b64 v[6:7], s5, v[6:7]
.LBB10_11:
	v_and_b32_e32 v7, 7, v6
	v_mul_u32_u24_e32 v7, 33, v7
	v_lshrrev_b32_e32 v6, 3, v6
	v_add_lshl_u32 v7, v7, v0, 1
	v_add_lshl_u32 v9, v7, v6, 1
	ds_read_u16 v8, v9
	s_and_b64 vcc, exec, s[0:1]
	s_waitcnt lgkmcnt(0)
	v_add_u16_e32 v6, 1, v8
	ds_write_b16 v9, v6
	s_cbranch_vccnz .LBB10_13
; %bb.12:
	v_bfrev_b32_e32 v6, 1
	v_cmp_lt_i64_e32 vcc, -1, v[2:3]
	s_mov_b32 s8, -1
	v_cndmask_b32_e32 v7, -1, v6, vcc
	v_ashrrev_i32_e32 v12, 31, v3
	s_brev_b32 s9, -2
	v_xor_b32_e32 v3, v7, v3
	v_xor_b32_e32 v2, v12, v2
	v_cmp_ne_u64_e32 vcc, s[8:9], v[2:3]
	s_and_b32 s8, s4, 63
	s_add_i32 s8, s8, s10
	v_cndmask_b32_e32 v3, v6, v3, vcc
	v_cndmask_b32_e32 v2, 0, v2, vcc
	s_sub_i32 s8, 64, s8
	v_lshlrev_b64 v[2:3], s8, v[2:3]
	v_lshrrev_b64 v[12:13], s5, v[2:3]
.LBB10_13:
	v_and_b32_e32 v2, 7, v12
	v_mul_u32_u24_e32 v2, 33, v2
	v_lshrrev_b32_e32 v3, 3, v12
	v_add_lshl_u32 v2, v2, v0, 1
	v_add_lshl_u32 v13, v2, v3, 1
	ds_read_u16 v12, v13
	s_and_b64 vcc, exec, s[0:1]
	v_mov_b32_e32 v2, 0
	v_mov_b32_e32 v6, 0
	s_waitcnt lgkmcnt(0)
	v_add_u16_e32 v3, 1, v12
	ds_write_b16 v13, v3
	s_cbranch_vccnz .LBB10_15
; %bb.14:
	v_bfrev_b32_e32 v3, 1
	v_cmp_lt_i64_e32 vcc, -1, v[4:5]
	s_mov_b32 s8, -1
	v_cndmask_b32_e32 v6, -1, v3, vcc
	v_ashrrev_i32_e32 v7, 31, v5
	s_brev_b32 s9, -2
	v_xor_b32_e32 v5, v6, v5
	v_xor_b32_e32 v4, v7, v4
	v_cmp_ne_u64_e32 vcc, s[8:9], v[4:5]
	s_and_b32 s8, s4, 63
	s_add_i32 s8, s8, s10
	v_cndmask_b32_e32 v5, v3, v5, vcc
	v_cndmask_b32_e32 v4, 0, v4, vcc
	s_sub_i32 s8, 64, s8
	v_lshlrev_b64 v[4:5], s8, v[4:5]
	v_lshrrev_b64 v[6:7], s5, v[4:5]
.LBB10_15:
	v_and_b32_e32 v3, 7, v6
	v_mul_u32_u24_e32 v3, 33, v3
	v_lshrrev_b32_e32 v4, 3, v6
	v_add_lshl_u32 v3, v3, v0, 1
	v_add_lshl_u32 v5, v3, v4, 1
	ds_read_u16 v4, v5
	s_and_b64 vcc, exec, s[0:1]
	s_waitcnt lgkmcnt(0)
	v_add_u16_e32 v3, 1, v4
	ds_write_b16 v5, v3
	s_cbranch_vccnz .LBB10_17
; %bb.16:
	v_bfrev_b32_e32 v6, 1
	v_cmp_lt_i64_e32 vcc, -1, v[10:11]
	s_mov_b32 s0, -1
	v_cndmask_b32_e32 v2, -1, v6, vcc
	v_ashrrev_i32_e32 v7, 31, v11
	s_brev_b32 s1, -2
	v_xor_b32_e32 v3, v2, v11
	v_xor_b32_e32 v2, v7, v10
	v_cmp_ne_u64_e32 vcc, s[0:1], v[2:3]
	s_and_b32 s0, s4, 63
	s_add_i32 s0, s0, s10
	v_cndmask_b32_e32 v3, v6, v3, vcc
	v_cndmask_b32_e32 v2, 0, v2, vcc
	s_sub_i32 s0, 64, s0
	v_lshlrev_b64 v[2:3], s0, v[2:3]
	v_lshrrev_b64 v[2:3], s5, v[2:3]
.LBB10_17:
	v_and_b32_e32 v3, 7, v2
	v_mul_u32_u24_e32 v3, 33, v3
	v_lshrrev_b32_e32 v2, 3, v2
	v_add_lshl_u32 v3, v3, v0, 1
	v_add_lshl_u32 v3, v3, v2, 1
	ds_read_u16 v2, v3
	v_lshlrev_b32_e32 v6, 5, v0
	s_waitcnt lgkmcnt(0)
	v_add_u16_e32 v7, 1, v2
	ds_write_b16 v3, v7
	s_waitcnt lgkmcnt(0)
	; wave barrier
	s_waitcnt lgkmcnt(0)
	ds_read2_b32 v[10:11], v6 offset1:1
	ds_read2_b32 v[18:19], v6 offset0:2 offset1:3
	ds_read2_b32 v[20:21], v6 offset0:4 offset1:5
	;; [unrolled: 1-line block ×3, first 2 shown]
	s_waitcnt lgkmcnt(3)
	v_add_u32_e32 v7, v11, v10
	s_waitcnt lgkmcnt(2)
	v_add3_u32 v7, v7, v18, v19
	s_waitcnt lgkmcnt(1)
	v_add3_u32 v7, v7, v20, v21
	;; [unrolled: 2-line block ×3, first 2 shown]
	v_mbcnt_lo_u32_b32 v7, -1, 0
	v_mbcnt_hi_u32_b32 v7, -1, v7
	v_and_b32_e32 v11, 15, v7
	v_mov_b32_dpp v15, v10 row_shr:1 row_mask:0xf bank_mask:0xf
	v_cmp_ne_u32_e32 vcc, 0, v11
	v_cndmask_b32_e32 v15, 0, v15, vcc
	v_add_u32_e32 v10, v15, v10
	v_cmp_lt_u32_e32 vcc, 1, v11
	s_nop 0
	v_mov_b32_dpp v15, v10 row_shr:2 row_mask:0xf bank_mask:0xf
	v_cndmask_b32_e32 v15, 0, v15, vcc
	v_add_u32_e32 v10, v10, v15
	v_cmp_lt_u32_e32 vcc, 3, v11
	s_nop 0
	v_mov_b32_dpp v15, v10 row_shr:4 row_mask:0xf bank_mask:0xf
	v_cndmask_b32_e32 v15, 0, v15, vcc
	v_add_u32_e32 v10, v10, v15
	v_cmp_lt_u32_e32 vcc, 7, v11
	s_nop 0
	v_mov_b32_dpp v15, v10 row_shr:8 row_mask:0xf bank_mask:0xf
	v_cndmask_b32_e32 v11, 0, v15, vcc
	v_add_u32_e32 v10, v10, v11
	v_bfe_i32 v15, v7, 4, 1
	v_cmp_lt_u32_e32 vcc, 31, v7
	v_mov_b32_dpp v11, v10 row_bcast:15 row_mask:0xf bank_mask:0xf
	v_and_b32_e32 v11, v15, v11
	v_add_u32_e32 v10, v10, v11
	s_nop 1
	v_mov_b32_dpp v11, v10 row_bcast:31 row_mask:0xf bank_mask:0xf
	v_cndmask_b32_e32 v11, 0, v11, vcc
	v_add_u32_e32 v10, v10, v11
	v_cmp_eq_u32_e32 vcc, 32, v0
	s_and_saveexec_b64 s[0:1], vcc
	s_cbranch_execz .LBB10_19
; %bb.18:
	v_mov_b32_e32 v0, 0
	ds_write_b32 v0, v10 offset:1056
.LBB10_19:
	s_or_b64 exec, exec, s[0:1]
	v_add_u32_e32 v0, -1, v7
	v_and_b32_e32 v11, 64, v7
	v_cmp_lt_i32_e32 vcc, v0, v11
	v_cndmask_b32_e32 v0, v0, v7, vcc
	v_lshlrev_b32_e32 v0, 2, v0
	ds_bpermute_b32 v0, v0, v10
	v_mov_b32_e32 v10, 0
	s_waitcnt lgkmcnt(0)
	; wave barrier
	s_waitcnt lgkmcnt(0)
	ds_read_b32 v15, v10 offset:1056
	ds_read2_b32 v[10:11], v6 offset1:1
	v_cmp_ne_u32_e32 vcc, 0, v7
	v_cndmask_b32_e32 v0, 0, v0, vcc
	ds_read2_b32 v[18:19], v6 offset0:2 offset1:3
	ds_read2_b32 v[20:21], v6 offset0:4 offset1:5
	ds_read_b32 v7, v6 offset:24
	s_waitcnt lgkmcnt(4)
	v_lshl_add_u32 v0, v15, 16, v0
	s_waitcnt lgkmcnt(3)
	v_add_u32_e32 v10, v0, v10
	ds_write2_b32 v6, v0, v10 offset1:1
	v_add_u32_e32 v0, v11, v10
	s_waitcnt lgkmcnt(3)
	v_add_u32_e32 v10, v18, v0
	ds_write2_b32 v6, v0, v10 offset0:2 offset1:3
	v_add_u32_e32 v0, v19, v10
	s_waitcnt lgkmcnt(3)
	v_add_u32_e32 v10, v20, v0
	ds_write2_b32 v6, v0, v10 offset0:4 offset1:5
	v_add_u32_e32 v0, v21, v10
	s_waitcnt lgkmcnt(3)
	v_add_u32_e32 v7, v7, v0
	ds_write2_b32 v6, v0, v7 offset0:6 offset1:7
	s_waitcnt lgkmcnt(0)
	; wave barrier
	s_waitcnt lgkmcnt(0)
	ds_read_u16 v0, v14
	ds_read_u16 v7, v9
	;; [unrolled: 1-line block ×5, first 2 shown]
	s_lshl_b64 s[0:1], s[6:7], 2
	s_add_u32 s0, s2, s0
	s_waitcnt lgkmcnt(4)
	v_add_u32_sdwa v6, v0, v1 dst_sel:DWORD dst_unused:UNUSED_PAD src0_sel:DWORD src1_sel:WORD_0
	s_waitcnt lgkmcnt(3)
	v_add_u32_sdwa v7, v7, v8 dst_sel:DWORD dst_unused:UNUSED_PAD src0_sel:DWORD src1_sel:WORD_0
	;; [unrolled: 2-line block ×4, first 2 shown]
	s_addc_u32 s1, s3, s1
	v_lshlrev_b32_e32 v1, 2, v16
	s_waitcnt lgkmcnt(0)
	v_add_u32_sdwa v0, v3, v2 dst_sel:DWORD dst_unused:UNUSED_PAD src0_sel:DWORD src1_sel:WORD_0
	global_store_dwordx4 v1, v[6:9], s[0:1]
	global_store_dword v1, v0, s[0:1] offset:16
	s_endpgm
	.section	.rodata,"a",@progbits
	.p2align	6, 0x0
	.amdhsa_kernel _Z11rank_kernelILj33ELj5ELj4ELb0EL18RadixRankAlgorithm0EdEvPKT4_Pijj
		.amdhsa_group_segment_fixed_size 1328
		.amdhsa_private_segment_fixed_size 0
		.amdhsa_kernarg_size 24
		.amdhsa_user_sgpr_count 6
		.amdhsa_user_sgpr_private_segment_buffer 1
		.amdhsa_user_sgpr_dispatch_ptr 0
		.amdhsa_user_sgpr_queue_ptr 0
		.amdhsa_user_sgpr_kernarg_segment_ptr 1
		.amdhsa_user_sgpr_dispatch_id 0
		.amdhsa_user_sgpr_flat_scratch_init 0
		.amdhsa_user_sgpr_kernarg_preload_length 0
		.amdhsa_user_sgpr_kernarg_preload_offset 0
		.amdhsa_user_sgpr_private_segment_size 0
		.amdhsa_uses_dynamic_stack 0
		.amdhsa_system_sgpr_private_segment_wavefront_offset 0
		.amdhsa_system_sgpr_workgroup_id_x 1
		.amdhsa_system_sgpr_workgroup_id_y 0
		.amdhsa_system_sgpr_workgroup_id_z 0
		.amdhsa_system_sgpr_workgroup_info 0
		.amdhsa_system_vgpr_workitem_id 0
		.amdhsa_next_free_vgpr 24
		.amdhsa_next_free_sgpr 15
		.amdhsa_accum_offset 24
		.amdhsa_reserve_vcc 1
		.amdhsa_reserve_flat_scratch 0
		.amdhsa_float_round_mode_32 0
		.amdhsa_float_round_mode_16_64 0
		.amdhsa_float_denorm_mode_32 3
		.amdhsa_float_denorm_mode_16_64 3
		.amdhsa_dx10_clamp 1
		.amdhsa_ieee_mode 1
		.amdhsa_fp16_overflow 0
		.amdhsa_tg_split 0
		.amdhsa_exception_fp_ieee_invalid_op 0
		.amdhsa_exception_fp_denorm_src 0
		.amdhsa_exception_fp_ieee_div_zero 0
		.amdhsa_exception_fp_ieee_overflow 0
		.amdhsa_exception_fp_ieee_underflow 0
		.amdhsa_exception_fp_ieee_inexact 0
		.amdhsa_exception_int_div_zero 0
	.end_amdhsa_kernel
	.section	.text._Z11rank_kernelILj33ELj5ELj4ELb0EL18RadixRankAlgorithm0EdEvPKT4_Pijj,"axG",@progbits,_Z11rank_kernelILj33ELj5ELj4ELb0EL18RadixRankAlgorithm0EdEvPKT4_Pijj,comdat
.Lfunc_end10:
	.size	_Z11rank_kernelILj33ELj5ELj4ELb0EL18RadixRankAlgorithm0EdEvPKT4_Pijj, .Lfunc_end10-_Z11rank_kernelILj33ELj5ELj4ELb0EL18RadixRankAlgorithm0EdEvPKT4_Pijj
                                        ; -- End function
	.section	.AMDGPU.csdata,"",@progbits
; Kernel info:
; codeLenInByte = 1604
; NumSgprs: 19
; NumVgprs: 24
; NumAgprs: 0
; TotalNumVgprs: 24
; ScratchSize: 0
; MemoryBound: 0
; FloatMode: 240
; IeeeMode: 1
; LDSByteSize: 1328 bytes/workgroup (compile time only)
; SGPRBlocks: 2
; VGPRBlocks: 2
; NumSGPRsForWavesPerEU: 19
; NumVGPRsForWavesPerEU: 24
; AccumOffset: 24
; Occupancy: 8
; WaveLimiterHint : 0
; COMPUTE_PGM_RSRC2:SCRATCH_EN: 0
; COMPUTE_PGM_RSRC2:USER_SGPR: 6
; COMPUTE_PGM_RSRC2:TRAP_HANDLER: 0
; COMPUTE_PGM_RSRC2:TGID_X_EN: 1
; COMPUTE_PGM_RSRC2:TGID_Y_EN: 0
; COMPUTE_PGM_RSRC2:TGID_Z_EN: 0
; COMPUTE_PGM_RSRC2:TIDIG_COMP_CNT: 0
; COMPUTE_PGM_RSRC3_GFX90A:ACCUM_OFFSET: 5
; COMPUTE_PGM_RSRC3_GFX90A:TG_SPLIT: 0
	.section	.text._Z11rank_kernelILj512ELj2ELj4ELb0EL18RadixRankAlgorithm0EfEvPKT4_Pijj,"axG",@progbits,_Z11rank_kernelILj512ELj2ELj4ELb0EL18RadixRankAlgorithm0EfEvPKT4_Pijj,comdat
	.protected	_Z11rank_kernelILj512ELj2ELj4ELb0EL18RadixRankAlgorithm0EfEvPKT4_Pijj ; -- Begin function _Z11rank_kernelILj512ELj2ELj4ELb0EL18RadixRankAlgorithm0EfEvPKT4_Pijj
	.globl	_Z11rank_kernelILj512ELj2ELj4ELb0EL18RadixRankAlgorithm0EfEvPKT4_Pijj
	.p2align	8
	.type	_Z11rank_kernelILj512ELj2ELj4ELb0EL18RadixRankAlgorithm0EfEvPKT4_Pijj,@function
_Z11rank_kernelILj512ELj2ELj4ELb0EL18RadixRankAlgorithm0EfEvPKT4_Pijj: ; @_Z11rank_kernelILj512ELj2ELj4ELb0EL18RadixRankAlgorithm0EfEvPKT4_Pijj
; %bb.0:
	s_load_dwordx4 s[0:3], s[4:5], 0x0
	s_lshl_b32 s6, s6, 10
	s_mov_b32 s7, 0
	s_lshl_b64 s[6:7], s[6:7], 2
	v_lshlrev_b32_e32 v1, 3, v0
	s_waitcnt lgkmcnt(0)
	s_add_u32 s0, s0, s6
	s_addc_u32 s1, s1, s7
	global_load_dwordx2 v[2:3], v1, s[0:1]
	v_lshlrev_b32_e32 v1, 2, v0
	v_mov_b32_e32 v5, 0
	v_or_b32_e32 v4, 0xa00, v0
	v_or_b32_e32 v6, 0x800, v0
	s_mov_b64 s[0:1], -1
	ds_write2st64_b32 v1, v5, v5 offset1:8
	ds_write2st64_b32 v1, v5, v5 offset0:16 offset1:24
	s_and_saveexec_b64 s[8:9], s[0:1]
	s_cbranch_execz .LBB11_2
; %bb.1:
	v_lshlrev_b32_e32 v6, 2, v6
	ds_write_b32 v6, v5
.LBB11_2:
	s_or_b64 exec, exec, s[8:9]
	s_and_saveexec_b64 s[8:9], s[0:1]
	s_cbranch_execz .LBB11_4
; %bb.3:
	v_lshlrev_b32_e32 v4, 2, v4
	v_mov_b32_e32 v5, 0
	ds_write_b32 v4, v5
.LBB11_4:
	s_or_b64 exec, exec, s[8:9]
	v_or_b32_e32 v4, 0xe00, v0
	v_or_b32_e32 v5, 0xc00, v0
	v_cmp_gt_u32_e64 s[0:1], 7, 6
	v_cmp_gt_u32_e64 s[10:11], 7, 5
	s_and_saveexec_b64 s[8:9], s[10:11]
	s_cbranch_execz .LBB11_6
; %bb.5:
	v_lshlrev_b32_e32 v5, 2, v5
	v_mov_b32_e32 v6, 0
	ds_write_b32 v5, v6
.LBB11_6:
	s_or_b64 exec, exec, s[8:9]
	s_and_saveexec_b64 s[8:9], s[0:1]
	s_cbranch_execz .LBB11_8
; %bb.7:
	v_lshlrev_b32_e32 v4, 2, v4
	v_mov_b32_e32 v5, 0
	ds_write_b32 v4, v5
.LBB11_8:
	s_or_b64 exec, exec, s[8:9]
	s_load_dwordx2 s[0:1], s[4:5], 0x10
	v_bfrev_b32_e32 v5, 1
	s_waitcnt vmcnt(0)
	v_cmp_lt_i32_e32 vcc, -1, v2
	v_cndmask_b32_e32 v4, -1, v5, vcc
	v_xor_b32_e32 v2, v4, v2
	s_waitcnt lgkmcnt(0)
	s_and_b32 s1, s1, 31
	s_cmp_eq_u32 s1, 0
	s_cselect_b64 s[4:5], -1, 0
	s_and_b32 s0, s0, 31
	s_brev_b32 s8, -2
	s_add_i32 s0, s0, s1
	v_cmp_ne_u32_e32 vcc, s8, v2
	s_sub_i32 s0, 32, s0
	v_cndmask_b32_e32 v2, v5, v2, vcc
	s_sub_i32 s1, 32, s1
	v_lshlrev_b32_e32 v2, s0, v2
	v_lshrrev_b32_e32 v2, s1, v2
	v_cndmask_b32_e64 v2, v2, 0, s[4:5]
	v_cmp_lt_i32_e32 vcc, -1, v3
	v_lshrrev_b32_e32 v4, 3, v2
	v_lshlrev_b32_e32 v2, 9, v2
	s_movk_i32 s9, 0xe00
	v_cndmask_b32_e32 v6, -1, v5, vcc
	v_and_or_b32 v2, v2, s9, v0
	v_xor_b32_e32 v3, v6, v3
	v_lshlrev_b32_e32 v2, 1, v2
	v_cmp_ne_u32_e32 vcc, s8, v3
	v_add_lshl_u32 v4, v2, v4, 1
	v_cndmask_b32_e32 v3, v5, v3, vcc
	ds_read_u16 v2, v4
	v_lshlrev_b32_e32 v3, s0, v3
	v_lshrrev_b32_e32 v3, s1, v3
	v_cndmask_b32_e64 v3, v3, 0, s[4:5]
	v_lshrrev_b32_e32 v5, 3, v3
	v_lshlrev_b32_e32 v3, 9, v3
	v_and_or_b32 v3, v3, s9, v0
	s_waitcnt lgkmcnt(0)
	v_add_u16_e32 v6, 1, v2
	v_lshlrev_b32_e32 v3, 1, v3
	ds_write_b16 v4, v6
	v_add_lshl_u32 v5, v3, v5, 1
	ds_read_u16 v3, v5
	s_waitcnt lgkmcnt(0)
	v_add_u16_e32 v6, 1, v3
	ds_write_b16 v5, v6
	v_lshlrev_b32_e32 v6, 5, v0
	s_waitcnt lgkmcnt(0)
	s_barrier
	ds_read2_b32 v[8:9], v6 offset1:1
	ds_read2_b32 v[10:11], v6 offset0:2 offset1:3
	ds_read2_b32 v[12:13], v6 offset0:4 offset1:5
	;; [unrolled: 1-line block ×3, first 2 shown]
	s_waitcnt lgkmcnt(3)
	v_add_u32_e32 v7, v9, v8
	s_waitcnt lgkmcnt(2)
	v_add3_u32 v7, v7, v10, v11
	v_mbcnt_lo_u32_b32 v8, -1, 0
	s_waitcnt lgkmcnt(1)
	v_add3_u32 v7, v7, v12, v13
	v_mbcnt_hi_u32_b32 v8, -1, v8
	s_waitcnt lgkmcnt(0)
	v_add3_u32 v7, v7, v14, v15
	v_and_b32_e32 v9, 15, v8
	v_cmp_ne_u32_e32 vcc, 0, v9
	v_mov_b32_dpp v10, v7 row_shr:1 row_mask:0xf bank_mask:0xf
	v_cndmask_b32_e32 v10, 0, v10, vcc
	v_add_u32_e32 v7, v10, v7
	v_cmp_lt_u32_e32 vcc, 1, v9
	s_nop 0
	v_mov_b32_dpp v10, v7 row_shr:2 row_mask:0xf bank_mask:0xf
	v_cndmask_b32_e32 v10, 0, v10, vcc
	v_add_u32_e32 v7, v7, v10
	v_cmp_lt_u32_e32 vcc, 3, v9
	s_nop 0
	v_mov_b32_dpp v10, v7 row_shr:4 row_mask:0xf bank_mask:0xf
	v_cndmask_b32_e32 v10, 0, v10, vcc
	v_add_u32_e32 v7, v7, v10
	v_cmp_lt_u32_e32 vcc, 7, v9
	s_nop 0
	v_mov_b32_dpp v10, v7 row_shr:8 row_mask:0xf bank_mask:0xf
	v_cndmask_b32_e32 v9, 0, v10, vcc
	v_add_u32_e32 v7, v7, v9
	v_bfe_i32 v10, v8, 4, 1
	v_cmp_lt_u32_e32 vcc, 31, v8
	v_mov_b32_dpp v9, v7 row_bcast:15 row_mask:0xf bank_mask:0xf
	v_and_b32_e32 v9, v10, v9
	v_add_u32_e32 v7, v7, v9
	v_or_b32_e32 v10, 63, v0
	s_nop 0
	v_mov_b32_dpp v9, v7 row_bcast:31 row_mask:0xf bank_mask:0xf
	v_cndmask_b32_e32 v9, 0, v9, vcc
	v_add_u32_e32 v9, v7, v9
	v_lshrrev_b32_e32 v7, 6, v0
	v_cmp_eq_u32_e32 vcc, v10, v0
	v_lshlrev_b32_e32 v10, 2, v7
	s_and_saveexec_b64 s[0:1], vcc
	s_cbranch_execz .LBB11_10
; %bb.9:
	ds_write_b32 v10, v9 offset:16384
.LBB11_10:
	s_or_b64 exec, exec, s[0:1]
	v_lshlrev_b32_e32 v7, 1, v0
	v_cmp_gt_u32_e32 vcc, 8, v0
	s_waitcnt lgkmcnt(0)
	s_barrier
	s_and_saveexec_b64 s[0:1], vcc
	s_cbranch_execz .LBB11_12
; %bb.11:
	ds_read_b32 v11, v1 offset:16384
	v_and_b32_e32 v12, 7, v8
	v_cmp_ne_u32_e32 vcc, 0, v12
	s_waitcnt lgkmcnt(0)
	v_mov_b32_dpp v13, v11 row_shr:1 row_mask:0xf bank_mask:0xf
	v_cndmask_b32_e32 v13, 0, v13, vcc
	v_add_u32_e32 v11, v13, v11
	v_cmp_lt_u32_e32 vcc, 1, v12
	s_nop 0
	v_mov_b32_dpp v13, v11 row_shr:2 row_mask:0xf bank_mask:0xf
	v_cndmask_b32_e32 v13, 0, v13, vcc
	v_add_u32_e32 v11, v11, v13
	v_cmp_lt_u32_e32 vcc, 3, v12
	s_nop 0
	v_mov_b32_dpp v13, v11 row_shr:4 row_mask:0xf bank_mask:0xf
	v_cndmask_b32_e32 v12, 0, v13, vcc
	v_add_u32_e32 v11, v11, v12
	ds_write_b32 v1, v11 offset:16384
.LBB11_12:
	s_or_b64 exec, exec, s[0:1]
	v_cmp_lt_u32_e32 vcc, 63, v0
	v_mov_b32_e32 v0, 0
	v_mov_b32_e32 v1, 0
	s_waitcnt lgkmcnt(0)
	s_barrier
	s_and_saveexec_b64 s[0:1], vcc
	s_cbranch_execz .LBB11_14
; %bb.13:
	ds_read_b32 v1, v10 offset:16380
.LBB11_14:
	s_or_b64 exec, exec, s[0:1]
	v_add_u32_e32 v10, -1, v8
	v_and_b32_e32 v11, 64, v8
	v_cmp_lt_i32_e32 vcc, v10, v11
	v_cndmask_b32_e32 v10, v10, v8, vcc
	s_waitcnt lgkmcnt(0)
	v_add_u32_e32 v9, v1, v9
	v_lshlrev_b32_e32 v10, 2, v10
	ds_bpermute_b32 v9, v10, v9
	ds_read_b32 v10, v0 offset:16412
	v_cmp_eq_u32_e32 vcc, 0, v8
	s_add_u32 s0, s2, s6
	s_addc_u32 s1, s3, s7
	s_waitcnt lgkmcnt(1)
	v_cndmask_b32_e32 v8, v9, v1, vcc
	ds_read2_b32 v[0:1], v6 offset1:1
	s_waitcnt lgkmcnt(1)
	v_lshl_add_u32 v12, v10, 16, v8
	ds_read2_b32 v[8:9], v6 offset0:2 offset1:3
	ds_read2_b32 v[10:11], v6 offset0:4 offset1:5
	ds_read_b32 v13, v6 offset:24
	s_waitcnt lgkmcnt(3)
	v_add_u32_e32 v0, v12, v0
	ds_write2_b32 v6, v12, v0 offset1:1
	v_add_u32_e32 v0, v1, v0
	s_waitcnt lgkmcnt(3)
	v_add_u32_e32 v1, v8, v0
	ds_write2_b32 v6, v0, v1 offset0:2 offset1:3
	v_add_u32_e32 v0, v9, v1
	s_waitcnt lgkmcnt(3)
	v_add_u32_e32 v1, v10, v0
	ds_write2_b32 v6, v0, v1 offset0:4 offset1:5
	;; [unrolled: 4-line block ×3, first 2 shown]
	s_waitcnt lgkmcnt(0)
	s_barrier
	ds_read_u16 v0, v4
	ds_read_u16 v1, v5
	s_waitcnt lgkmcnt(1)
	v_add_u32_sdwa v0, v0, v2 dst_sel:DWORD dst_unused:UNUSED_PAD src0_sel:DWORD src1_sel:WORD_0
	s_waitcnt lgkmcnt(0)
	v_add_u32_sdwa v1, v1, v3 dst_sel:DWORD dst_unused:UNUSED_PAD src0_sel:DWORD src1_sel:WORD_0
	v_lshlrev_b32_e32 v2, 2, v7
	global_store_dwordx2 v2, v[0:1], s[0:1]
	s_endpgm
	.section	.rodata,"a",@progbits
	.p2align	6, 0x0
	.amdhsa_kernel _Z11rank_kernelILj512ELj2ELj4ELb0EL18RadixRankAlgorithm0EfEvPKT4_Pijj
		.amdhsa_group_segment_fixed_size 16416
		.amdhsa_private_segment_fixed_size 0
		.amdhsa_kernarg_size 24
		.amdhsa_user_sgpr_count 6
		.amdhsa_user_sgpr_private_segment_buffer 1
		.amdhsa_user_sgpr_dispatch_ptr 0
		.amdhsa_user_sgpr_queue_ptr 0
		.amdhsa_user_sgpr_kernarg_segment_ptr 1
		.amdhsa_user_sgpr_dispatch_id 0
		.amdhsa_user_sgpr_flat_scratch_init 0
		.amdhsa_user_sgpr_kernarg_preload_length 0
		.amdhsa_user_sgpr_kernarg_preload_offset 0
		.amdhsa_user_sgpr_private_segment_size 0
		.amdhsa_uses_dynamic_stack 0
		.amdhsa_system_sgpr_private_segment_wavefront_offset 0
		.amdhsa_system_sgpr_workgroup_id_x 1
		.amdhsa_system_sgpr_workgroup_id_y 0
		.amdhsa_system_sgpr_workgroup_id_z 0
		.amdhsa_system_sgpr_workgroup_info 0
		.amdhsa_system_vgpr_workitem_id 0
		.amdhsa_next_free_vgpr 16
		.amdhsa_next_free_sgpr 12
		.amdhsa_accum_offset 16
		.amdhsa_reserve_vcc 1
		.amdhsa_reserve_flat_scratch 0
		.amdhsa_float_round_mode_32 0
		.amdhsa_float_round_mode_16_64 0
		.amdhsa_float_denorm_mode_32 3
		.amdhsa_float_denorm_mode_16_64 3
		.amdhsa_dx10_clamp 1
		.amdhsa_ieee_mode 1
		.amdhsa_fp16_overflow 0
		.amdhsa_tg_split 0
		.amdhsa_exception_fp_ieee_invalid_op 0
		.amdhsa_exception_fp_denorm_src 0
		.amdhsa_exception_fp_ieee_div_zero 0
		.amdhsa_exception_fp_ieee_overflow 0
		.amdhsa_exception_fp_ieee_underflow 0
		.amdhsa_exception_fp_ieee_inexact 0
		.amdhsa_exception_int_div_zero 0
	.end_amdhsa_kernel
	.section	.text._Z11rank_kernelILj512ELj2ELj4ELb0EL18RadixRankAlgorithm0EfEvPKT4_Pijj,"axG",@progbits,_Z11rank_kernelILj512ELj2ELj4ELb0EL18RadixRankAlgorithm0EfEvPKT4_Pijj,comdat
.Lfunc_end11:
	.size	_Z11rank_kernelILj512ELj2ELj4ELb0EL18RadixRankAlgorithm0EfEvPKT4_Pijj, .Lfunc_end11-_Z11rank_kernelILj512ELj2ELj4ELb0EL18RadixRankAlgorithm0EfEvPKT4_Pijj
                                        ; -- End function
	.section	.AMDGPU.csdata,"",@progbits
; Kernel info:
; codeLenInByte = 1152
; NumSgprs: 16
; NumVgprs: 16
; NumAgprs: 0
; TotalNumVgprs: 16
; ScratchSize: 0
; MemoryBound: 0
; FloatMode: 240
; IeeeMode: 1
; LDSByteSize: 16416 bytes/workgroup (compile time only)
; SGPRBlocks: 1
; VGPRBlocks: 1
; NumSGPRsForWavesPerEU: 16
; NumVGPRsForWavesPerEU: 16
; AccumOffset: 16
; Occupancy: 6
; WaveLimiterHint : 0
; COMPUTE_PGM_RSRC2:SCRATCH_EN: 0
; COMPUTE_PGM_RSRC2:USER_SGPR: 6
; COMPUTE_PGM_RSRC2:TRAP_HANDLER: 0
; COMPUTE_PGM_RSRC2:TGID_X_EN: 1
; COMPUTE_PGM_RSRC2:TGID_Y_EN: 0
; COMPUTE_PGM_RSRC2:TGID_Z_EN: 0
; COMPUTE_PGM_RSRC2:TIDIG_COMP_CNT: 0
; COMPUTE_PGM_RSRC3_GFX90A:ACCUM_OFFSET: 3
; COMPUTE_PGM_RSRC3_GFX90A:TG_SPLIT: 0
	.section	.text._Z11rank_kernelILj256ELj7ELj4ELb0EL18RadixRankAlgorithm0EtEvPKT4_Pijj,"axG",@progbits,_Z11rank_kernelILj256ELj7ELj4ELb0EL18RadixRankAlgorithm0EtEvPKT4_Pijj,comdat
	.protected	_Z11rank_kernelILj256ELj7ELj4ELb0EL18RadixRankAlgorithm0EtEvPKT4_Pijj ; -- Begin function _Z11rank_kernelILj256ELj7ELj4ELb0EL18RadixRankAlgorithm0EtEvPKT4_Pijj
	.globl	_Z11rank_kernelILj256ELj7ELj4ELb0EL18RadixRankAlgorithm0EtEvPKT4_Pijj
	.p2align	8
	.type	_Z11rank_kernelILj256ELj7ELj4ELb0EL18RadixRankAlgorithm0EtEvPKT4_Pijj,@function
_Z11rank_kernelILj256ELj7ELj4ELb0EL18RadixRankAlgorithm0EtEvPKT4_Pijj: ; @_Z11rank_kernelILj256ELj7ELj4ELb0EL18RadixRankAlgorithm0EtEvPKT4_Pijj
; %bb.0:
	s_load_dwordx4 s[0:3], s[4:5], 0x0
	s_mulk_i32 s6, 0x700
	s_mov_b32 s7, 0
	s_lshl_b64 s[8:9], s[6:7], 1
	v_mul_u32_u24_e32 v2, 7, v0
	s_waitcnt lgkmcnt(0)
	s_add_u32 s0, s0, s8
	s_addc_u32 s1, s1, s9
	v_lshlrev_b32_e32 v1, 1, v2
	global_load_dwordx3 v[4:6], v1, s[0:1]
	global_load_ushort v3, v1, s[0:1] offset:12
	v_or_b32_e32 v1, 0x100, v0
	v_mov_b32_e32 v7, 0
	s_mov_b64 s[0:1], 0
	s_mov_b32 s12, s7
	v_pk_mov_b32 v[8:9], v[0:1], v[0:1] op_sel:[0,1]
	s_branch .LBB12_2
.LBB12_1:                               ;   in Loop: Header=BB12_2 Depth=1
	s_or_b64 exec, exec, s[10:11]
	s_add_i32 s12, s12, 2
	v_cmp_eq_u32_e64 s[8:9], 8, s12
	v_add_u32_e32 v9, 0x200, v9
	s_or_b64 s[0:1], s[8:9], s[0:1]
	v_add_u32_e32 v8, 0x200, v8
	s_andn2_b64 exec, exec, s[0:1]
	s_cbranch_execz .LBB12_6
.LBB12_2:                               ; =>This Inner Loop Header: Depth=1
	s_or_b32 s8, s12, 1
	v_cmp_le_u32_e64 s[8:9], s8, 7
	v_cmp_le_u32_e64 s[14:15], s12, 7
	s_and_saveexec_b64 s[10:11], s[14:15]
	s_cbranch_execz .LBB12_4
; %bb.3:                                ;   in Loop: Header=BB12_2 Depth=1
	v_lshlrev_b32_e32 v1, 2, v8
	ds_write_b32 v1, v7
.LBB12_4:                               ;   in Loop: Header=BB12_2 Depth=1
	s_or_b64 exec, exec, s[10:11]
	s_and_saveexec_b64 s[10:11], s[8:9]
	s_cbranch_execz .LBB12_1
; %bb.5:                                ;   in Loop: Header=BB12_2 Depth=1
	v_lshlrev_b32_e32 v1, 2, v9
	ds_write_b32 v1, v7
	s_branch .LBB12_1
.LBB12_6:
	s_or_b64 exec, exec, s[0:1]
	s_load_dwordx2 s[0:1], s[4:5], 0x10
	s_movk_i32 s8, 0x700
	s_waitcnt lgkmcnt(0)
	s_and_b32 s1, s1, 31
	s_cmp_eq_u32 s1, 0
	s_cselect_b64 s[4:5], -1, 0
	s_and_b32 s0, s0, 31
	s_add_i32 s0, s0, s1
	s_sub_i32 s0, 32, s0
	s_sub_i32 s9, 32, s1
	s_waitcnt vmcnt(1)
	v_lshlrev_b32_sdwa v1, s0, v4 dst_sel:DWORD dst_unused:UNUSED_PAD src0_sel:DWORD src1_sel:WORD_0
	v_bfe_u32 v1, v1, s9, 16
	v_cndmask_b32_e64 v1, v1, 0, s[4:5]
	v_lshrrev_b32_e32 v7, 3, v1
	v_lshlrev_b32_e32 v1, 8, v1
	v_and_or_b32 v1, v1, s8, v0
	v_lshlrev_b32_e32 v1, 1, v1
	v_add_lshl_u32 v7, v1, v7, 1
	ds_read_u16 v1, v7
	v_lshlrev_b32_sdwa v4, s0, v4 dst_sel:DWORD dst_unused:UNUSED_PAD src0_sel:DWORD src1_sel:WORD_1
	v_bfe_u32 v4, v4, s9, 16
	v_cndmask_b32_e64 v4, v4, 0, s[4:5]
	v_lshrrev_b32_e32 v8, 3, v4
	v_lshlrev_b32_e32 v4, 8, v4
	v_and_or_b32 v4, v4, s8, v0
	s_waitcnt lgkmcnt(0)
	v_add_u16_e32 v9, 1, v1
	v_lshlrev_b32_e32 v4, 1, v4
	ds_write_b16 v7, v9
	v_add_lshl_u32 v9, v4, v8, 1
	ds_read_u16 v4, v9
	s_waitcnt vmcnt(0)
	v_lshlrev_b32_sdwa v3, s0, v3 dst_sel:DWORD dst_unused:UNUSED_PAD src0_sel:DWORD src1_sel:WORD_0
	v_bfe_u32 v3, v3, s9, 16
	v_cndmask_b32_e64 v3, v3, 0, s[4:5]
	s_waitcnt lgkmcnt(0)
	v_add_u16_e32 v8, 1, v4
	ds_write_b16 v9, v8
	v_lshlrev_b32_sdwa v8, s0, v5 dst_sel:DWORD dst_unused:UNUSED_PAD src0_sel:DWORD src1_sel:WORD_0
	v_bfe_u32 v8, v8, s9, 16
	v_cndmask_b32_e64 v8, v8, 0, s[4:5]
	v_lshrrev_b32_e32 v10, 3, v8
	v_lshlrev_b32_e32 v8, 8, v8
	v_and_or_b32 v8, v8, s8, v0
	v_lshlrev_b32_e32 v8, 1, v8
	v_add_lshl_u32 v10, v8, v10, 1
	ds_read_u16 v8, v10
	v_lshlrev_b32_sdwa v5, s0, v5 dst_sel:DWORD dst_unused:UNUSED_PAD src0_sel:DWORD src1_sel:WORD_1
	v_bfe_u32 v5, v5, s9, 16
	v_cndmask_b32_e64 v5, v5, 0, s[4:5]
	s_waitcnt lgkmcnt(0)
	v_add_u16_e32 v11, 1, v8
	ds_write_b16 v10, v11
	v_lshrrev_b32_e32 v11, 3, v5
	v_lshlrev_b32_e32 v5, 8, v5
	v_and_or_b32 v5, v5, s8, v0
	v_lshlrev_b32_e32 v5, 1, v5
	v_add_lshl_u32 v11, v5, v11, 1
	ds_read_u16 v5, v11
	s_waitcnt lgkmcnt(0)
	v_add_u16_e32 v12, 1, v5
	ds_write_b16 v11, v12
	v_lshlrev_b32_sdwa v12, s0, v6 dst_sel:DWORD dst_unused:UNUSED_PAD src0_sel:DWORD src1_sel:WORD_0
	v_bfe_u32 v12, v12, s9, 16
	v_cndmask_b32_e64 v12, v12, 0, s[4:5]
	v_lshrrev_b32_e32 v13, 3, v12
	v_lshlrev_b32_e32 v12, 8, v12
	v_and_or_b32 v12, v12, s8, v0
	v_lshlrev_b32_e32 v12, 1, v12
	v_add_lshl_u32 v13, v12, v13, 1
	ds_read_u16 v12, v13
	v_lshlrev_b32_sdwa v6, s0, v6 dst_sel:DWORD dst_unused:UNUSED_PAD src0_sel:DWORD src1_sel:WORD_1
	v_bfe_u32 v6, v6, s9, 16
	v_cndmask_b32_e64 v6, v6, 0, s[4:5]
	s_waitcnt lgkmcnt(0)
	v_add_u16_e32 v14, 1, v12
	ds_write_b16 v13, v14
	v_lshrrev_b32_e32 v14, 3, v6
	v_lshlrev_b32_e32 v6, 8, v6
	v_and_or_b32 v6, v6, s8, v0
	v_lshlrev_b32_e32 v6, 1, v6
	v_add_lshl_u32 v14, v6, v14, 1
	ds_read_u16 v6, v14
	s_waitcnt lgkmcnt(0)
	v_add_u16_e32 v15, 1, v6
	ds_write_b16 v14, v15
	v_lshrrev_b32_e32 v15, 3, v3
	v_lshlrev_b32_e32 v3, 8, v3
	v_and_or_b32 v3, v3, s8, v0
	v_lshlrev_b32_e32 v3, 1, v3
	v_add_lshl_u32 v15, v3, v15, 1
	ds_read_u16 v3, v15
	s_waitcnt lgkmcnt(0)
	v_add_u16_e32 v16, 1, v3
	ds_write_b16 v15, v16
	v_lshlrev_b32_e32 v16, 5, v0
	s_waitcnt lgkmcnt(0)
	s_barrier
	ds_read2_b32 v[18:19], v16 offset1:1
	ds_read2_b32 v[20:21], v16 offset0:2 offset1:3
	ds_read2_b32 v[22:23], v16 offset0:4 offset1:5
	;; [unrolled: 1-line block ×3, first 2 shown]
	s_waitcnt lgkmcnt(3)
	v_add_u32_e32 v17, v19, v18
	s_waitcnt lgkmcnt(2)
	v_add3_u32 v17, v17, v20, v21
	s_waitcnt lgkmcnt(1)
	v_add3_u32 v17, v17, v22, v23
	;; [unrolled: 2-line block ×3, first 2 shown]
	v_mbcnt_lo_u32_b32 v17, -1, 0
	v_mbcnt_hi_u32_b32 v17, -1, v17
	v_and_b32_e32 v19, 15, v17
	v_mov_b32_dpp v20, v18 row_shr:1 row_mask:0xf bank_mask:0xf
	v_cmp_ne_u32_e32 vcc, 0, v19
	v_cndmask_b32_e32 v20, 0, v20, vcc
	v_add_u32_e32 v18, v20, v18
	v_cmp_lt_u32_e32 vcc, 1, v19
	s_nop 0
	v_mov_b32_dpp v20, v18 row_shr:2 row_mask:0xf bank_mask:0xf
	v_cndmask_b32_e32 v20, 0, v20, vcc
	v_add_u32_e32 v18, v18, v20
	v_cmp_lt_u32_e32 vcc, 3, v19
	s_nop 0
	v_mov_b32_dpp v20, v18 row_shr:4 row_mask:0xf bank_mask:0xf
	;; [unrolled: 5-line block ×3, first 2 shown]
	v_cndmask_b32_e32 v19, 0, v20, vcc
	v_add_u32_e32 v18, v18, v19
	v_bfe_i32 v20, v17, 4, 1
	v_cmp_lt_u32_e32 vcc, 31, v17
	v_mov_b32_dpp v19, v18 row_bcast:15 row_mask:0xf bank_mask:0xf
	v_and_b32_e32 v19, v20, v19
	v_add_u32_e32 v18, v18, v19
	v_or_b32_e32 v20, 63, v0
	s_nop 0
	v_mov_b32_dpp v19, v18 row_bcast:31 row_mask:0xf bank_mask:0xf
	v_cndmask_b32_e32 v19, 0, v19, vcc
	v_add_u32_e32 v18, v18, v19
	v_lshrrev_b32_e32 v19, 6, v0
	v_cmp_eq_u32_e32 vcc, v20, v0
	v_lshlrev_b32_e32 v19, 2, v19
	s_and_saveexec_b64 s[0:1], vcc
	s_cbranch_execz .LBB12_8
; %bb.7:
	ds_write_b32 v19, v18 offset:8192
.LBB12_8:
	s_or_b64 exec, exec, s[0:1]
	v_cmp_gt_u32_e32 vcc, 4, v0
	s_waitcnt lgkmcnt(0)
	s_barrier
	s_and_saveexec_b64 s[0:1], vcc
	s_cbranch_execz .LBB12_10
; %bb.9:
	v_lshlrev_b32_e32 v20, 2, v0
	ds_read_b32 v21, v20 offset:8192
	v_and_b32_e32 v22, 3, v17
	v_cmp_ne_u32_e32 vcc, 0, v22
	s_waitcnt lgkmcnt(0)
	v_mov_b32_dpp v23, v21 row_shr:1 row_mask:0xf bank_mask:0xf
	v_cndmask_b32_e32 v23, 0, v23, vcc
	v_add_u32_e32 v21, v23, v21
	v_cmp_lt_u32_e32 vcc, 1, v22
	s_nop 0
	v_mov_b32_dpp v23, v21 row_shr:2 row_mask:0xf bank_mask:0xf
	v_cndmask_b32_e32 v22, 0, v23, vcc
	v_add_u32_e32 v21, v21, v22
	ds_write_b32 v20, v21 offset:8192
.LBB12_10:
	s_or_b64 exec, exec, s[0:1]
	v_cmp_lt_u32_e32 vcc, 63, v0
	v_mov_b32_e32 v0, 0
	v_mov_b32_e32 v20, 0
	s_waitcnt lgkmcnt(0)
	s_barrier
	s_and_saveexec_b64 s[0:1], vcc
	s_cbranch_execz .LBB12_12
; %bb.11:
	ds_read_b32 v20, v19 offset:8188
.LBB12_12:
	s_or_b64 exec, exec, s[0:1]
	v_add_u32_e32 v19, -1, v17
	v_and_b32_e32 v21, 64, v17
	v_cmp_lt_i32_e32 vcc, v19, v21
	v_cndmask_b32_e32 v19, v19, v17, vcc
	s_waitcnt lgkmcnt(0)
	v_add_u32_e32 v18, v20, v18
	v_lshlrev_b32_e32 v19, 2, v19
	ds_bpermute_b32 v18, v19, v18
	ds_read_b32 v0, v0 offset:8204
	v_cmp_eq_u32_e32 vcc, 0, v17
	s_lshl_b64 s[0:1], s[6:7], 2
	s_add_u32 s0, s2, s0
	s_waitcnt lgkmcnt(1)
	v_cndmask_b32_e32 v17, v18, v20, vcc
	ds_read2_b32 v[18:19], v16 offset1:1
	s_waitcnt lgkmcnt(1)
	v_lshl_add_u32 v0, v0, 16, v17
	ds_read2_b32 v[20:21], v16 offset0:2 offset1:3
	ds_read2_b32 v[22:23], v16 offset0:4 offset1:5
	ds_read_b32 v17, v16 offset:24
	s_addc_u32 s1, s3, s1
	s_waitcnt lgkmcnt(3)
	v_add_u32_e32 v18, v0, v18
	ds_write2_b32 v16, v0, v18 offset1:1
	v_add_u32_e32 v0, v19, v18
	s_waitcnt lgkmcnt(3)
	v_add_u32_e32 v18, v20, v0
	ds_write2_b32 v16, v0, v18 offset0:2 offset1:3
	v_add_u32_e32 v0, v21, v18
	s_waitcnt lgkmcnt(3)
	v_add_u32_e32 v18, v22, v0
	ds_write2_b32 v16, v0, v18 offset0:4 offset1:5
	;; [unrolled: 4-line block ×3, first 2 shown]
	s_waitcnt lgkmcnt(0)
	s_barrier
	ds_read_u16 v0, v7
	ds_read_u16 v7, v9
	ds_read_u16 v9, v10
	ds_read_u16 v10, v11
	ds_read_u16 v11, v13
	ds_read_u16 v13, v14
	ds_read_u16 v18, v15
	s_waitcnt lgkmcnt(6)
	v_add_u32_sdwa v14, v0, v1 dst_sel:DWORD dst_unused:UNUSED_PAD src0_sel:DWORD src1_sel:WORD_0
	s_waitcnt lgkmcnt(5)
	v_add_u32_sdwa v15, v7, v4 dst_sel:DWORD dst_unused:UNUSED_PAD src0_sel:DWORD src1_sel:WORD_0
	;; [unrolled: 2-line block ×4, first 2 shown]
	v_lshlrev_b32_e32 v0, 2, v2
	s_waitcnt lgkmcnt(2)
	v_add_u32_sdwa v4, v11, v12 dst_sel:DWORD dst_unused:UNUSED_PAD src0_sel:DWORD src1_sel:WORD_0
	s_waitcnt lgkmcnt(1)
	v_add_u32_sdwa v5, v13, v6 dst_sel:DWORD dst_unused:UNUSED_PAD src0_sel:DWORD src1_sel:WORD_0
	;; [unrolled: 2-line block ×3, first 2 shown]
	global_store_dwordx4 v0, v[14:17], s[0:1]
	global_store_dwordx3 v0, v[4:6], s[0:1] offset:16
	s_endpgm
	.section	.rodata,"a",@progbits
	.p2align	6, 0x0
	.amdhsa_kernel _Z11rank_kernelILj256ELj7ELj4ELb0EL18RadixRankAlgorithm0EtEvPKT4_Pijj
		.amdhsa_group_segment_fixed_size 8208
		.amdhsa_private_segment_fixed_size 0
		.amdhsa_kernarg_size 24
		.amdhsa_user_sgpr_count 6
		.amdhsa_user_sgpr_private_segment_buffer 1
		.amdhsa_user_sgpr_dispatch_ptr 0
		.amdhsa_user_sgpr_queue_ptr 0
		.amdhsa_user_sgpr_kernarg_segment_ptr 1
		.amdhsa_user_sgpr_dispatch_id 0
		.amdhsa_user_sgpr_flat_scratch_init 0
		.amdhsa_user_sgpr_kernarg_preload_length 0
		.amdhsa_user_sgpr_kernarg_preload_offset 0
		.amdhsa_user_sgpr_private_segment_size 0
		.amdhsa_uses_dynamic_stack 0
		.amdhsa_system_sgpr_private_segment_wavefront_offset 0
		.amdhsa_system_sgpr_workgroup_id_x 1
		.amdhsa_system_sgpr_workgroup_id_y 0
		.amdhsa_system_sgpr_workgroup_id_z 0
		.amdhsa_system_sgpr_workgroup_info 0
		.amdhsa_system_vgpr_workitem_id 0
		.amdhsa_next_free_vgpr 26
		.amdhsa_next_free_sgpr 16
		.amdhsa_accum_offset 28
		.amdhsa_reserve_vcc 1
		.amdhsa_reserve_flat_scratch 0
		.amdhsa_float_round_mode_32 0
		.amdhsa_float_round_mode_16_64 0
		.amdhsa_float_denorm_mode_32 3
		.amdhsa_float_denorm_mode_16_64 3
		.amdhsa_dx10_clamp 1
		.amdhsa_ieee_mode 1
		.amdhsa_fp16_overflow 0
		.amdhsa_tg_split 0
		.amdhsa_exception_fp_ieee_invalid_op 0
		.amdhsa_exception_fp_denorm_src 0
		.amdhsa_exception_fp_ieee_div_zero 0
		.amdhsa_exception_fp_ieee_overflow 0
		.amdhsa_exception_fp_ieee_underflow 0
		.amdhsa_exception_fp_ieee_inexact 0
		.amdhsa_exception_int_div_zero 0
	.end_amdhsa_kernel
	.section	.text._Z11rank_kernelILj256ELj7ELj4ELb0EL18RadixRankAlgorithm0EtEvPKT4_Pijj,"axG",@progbits,_Z11rank_kernelILj256ELj7ELj4ELb0EL18RadixRankAlgorithm0EtEvPKT4_Pijj,comdat
.Lfunc_end12:
	.size	_Z11rank_kernelILj256ELj7ELj4ELb0EL18RadixRankAlgorithm0EtEvPKT4_Pijj, .Lfunc_end12-_Z11rank_kernelILj256ELj7ELj4ELb0EL18RadixRankAlgorithm0EtEvPKT4_Pijj
                                        ; -- End function
	.section	.AMDGPU.csdata,"",@progbits
; Kernel info:
; codeLenInByte = 1568
; NumSgprs: 20
; NumVgprs: 26
; NumAgprs: 0
; TotalNumVgprs: 26
; ScratchSize: 0
; MemoryBound: 0
; FloatMode: 240
; IeeeMode: 1
; LDSByteSize: 8208 bytes/workgroup (compile time only)
; SGPRBlocks: 2
; VGPRBlocks: 3
; NumSGPRsForWavesPerEU: 20
; NumVGPRsForWavesPerEU: 26
; AccumOffset: 28
; Occupancy: 7
; WaveLimiterHint : 0
; COMPUTE_PGM_RSRC2:SCRATCH_EN: 0
; COMPUTE_PGM_RSRC2:USER_SGPR: 6
; COMPUTE_PGM_RSRC2:TRAP_HANDLER: 0
; COMPUTE_PGM_RSRC2:TGID_X_EN: 1
; COMPUTE_PGM_RSRC2:TGID_Y_EN: 0
; COMPUTE_PGM_RSRC2:TGID_Z_EN: 0
; COMPUTE_PGM_RSRC2:TIDIG_COMP_CNT: 0
; COMPUTE_PGM_RSRC3_GFX90A:ACCUM_OFFSET: 6
; COMPUTE_PGM_RSRC3_GFX90A:TG_SPLIT: 0
	.section	.text._Z11rank_kernelILj128ELj4ELj4ELb0EL18RadixRankAlgorithm0EiEvPKT4_Pijj,"axG",@progbits,_Z11rank_kernelILj128ELj4ELj4ELb0EL18RadixRankAlgorithm0EiEvPKT4_Pijj,comdat
	.protected	_Z11rank_kernelILj128ELj4ELj4ELb0EL18RadixRankAlgorithm0EiEvPKT4_Pijj ; -- Begin function _Z11rank_kernelILj128ELj4ELj4ELb0EL18RadixRankAlgorithm0EiEvPKT4_Pijj
	.globl	_Z11rank_kernelILj128ELj4ELj4ELb0EL18RadixRankAlgorithm0EiEvPKT4_Pijj
	.p2align	8
	.type	_Z11rank_kernelILj128ELj4ELj4ELb0EL18RadixRankAlgorithm0EiEvPKT4_Pijj,@function
_Z11rank_kernelILj128ELj4ELj4ELb0EL18RadixRankAlgorithm0EiEvPKT4_Pijj: ; @_Z11rank_kernelILj128ELj4ELj4ELb0EL18RadixRankAlgorithm0EiEvPKT4_Pijj
; %bb.0:
	s_load_dwordx4 s[0:3], s[4:5], 0x0
	s_lshl_b32 s8, s6, 9
	s_mov_b32 s9, 0
	s_lshl_b64 s[6:7], s[8:9], 2
	v_lshlrev_b32_e32 v1, 4, v0
	s_waitcnt lgkmcnt(0)
	s_add_u32 s0, s0, s6
	s_addc_u32 s1, s1, s7
	global_load_dwordx4 v[2:5], v1, s[0:1]
	v_or_b32_e32 v1, 0x80, v0
	v_lshlrev_b32_e32 v6, 2, v0
	v_mov_b32_e32 v7, 0
	s_mov_b64 s[0:1], 0
	v_pk_mov_b32 v[8:9], v[0:1], v[0:1] op_sel:[0,1]
	s_branch .LBB13_2
.LBB13_1:                               ;   in Loop: Header=BB13_2 Depth=1
	s_or_b64 exec, exec, s[12:13]
	s_add_i32 s9, s9, 2
	v_cmp_eq_u32_e64 s[10:11], 8, s9
	v_add_u32_e32 v9, 0x100, v9
	s_or_b64 s[0:1], s[10:11], s[0:1]
	v_add_u32_e32 v8, 0x100, v8
	s_andn2_b64 exec, exec, s[0:1]
	s_cbranch_execz .LBB13_6
.LBB13_2:                               ; =>This Inner Loop Header: Depth=1
	s_or_b32 s8, s9, 1
	v_cmp_le_u32_e64 s[10:11], s8, 7
	v_cmp_le_u32_e64 s[14:15], s9, 7
	s_and_saveexec_b64 s[12:13], s[14:15]
	s_cbranch_execz .LBB13_4
; %bb.3:                                ;   in Loop: Header=BB13_2 Depth=1
	v_lshlrev_b32_e32 v1, 2, v8
	ds_write_b32 v1, v7
.LBB13_4:                               ;   in Loop: Header=BB13_2 Depth=1
	s_or_b64 exec, exec, s[12:13]
	s_and_saveexec_b64 s[12:13], s[10:11]
	s_cbranch_execz .LBB13_1
; %bb.5:                                ;   in Loop: Header=BB13_2 Depth=1
	v_lshlrev_b32_e32 v1, 2, v9
	ds_write_b32 v1, v7
	s_branch .LBB13_1
.LBB13_6:
	s_or_b64 exec, exec, s[0:1]
	s_load_dwordx2 s[0:1], s[4:5], 0x10
	s_waitcnt vmcnt(0)
	v_xor_b32_e32 v1, 0x80000000, v2
	v_xor_b32_e32 v3, 0x80000000, v3
	;; [unrolled: 1-line block ×4, first 2 shown]
	s_waitcnt lgkmcnt(0)
	s_and_b32 s1, s1, 31
	s_cmp_eq_u32 s1, 0
	s_cselect_b64 s[4:5], -1, 0
	s_and_b32 s0, s0, 31
	s_add_i32 s0, s0, s1
	s_sub_i32 s0, 32, s0
	s_sub_i32 s8, 32, s1
	v_lshlrev_b32_e32 v1, s0, v1
	v_lshrrev_b32_e32 v1, s8, v1
	v_cndmask_b32_e64 v1, v1, 0, s[4:5]
	v_lshrrev_b32_e32 v2, 3, v1
	v_lshlrev_b32_e32 v1, 7, v1
	s_movk_i32 s1, 0x380
	v_and_or_b32 v1, v1, s1, v0
	v_lshlrev_b32_e32 v1, 1, v1
	v_add_lshl_u32 v2, v1, v2, 1
	ds_read_u16 v1, v2
	v_lshlrev_b32_e32 v3, s0, v3
	v_lshrrev_b32_e32 v3, s8, v3
	v_cndmask_b32_e64 v3, v3, 0, s[4:5]
	v_lshlrev_b32_e32 v4, s0, v4
	s_waitcnt lgkmcnt(0)
	v_add_u16_e32 v7, 1, v1
	ds_write_b16 v2, v7
	v_lshrrev_b32_e32 v7, 3, v3
	v_lshlrev_b32_e32 v3, 7, v3
	v_and_or_b32 v3, v3, s1, v0
	v_lshlrev_b32_e32 v3, 1, v3
	v_add_lshl_u32 v7, v3, v7, 1
	ds_read_u16 v3, v7
	v_lshrrev_b32_e32 v4, s8, v4
	v_cndmask_b32_e64 v4, v4, 0, s[4:5]
	v_lshlrev_b32_e32 v5, s0, v5
	v_lshrrev_b32_e32 v5, s8, v5
	s_waitcnt lgkmcnt(0)
	v_add_u16_e32 v8, 1, v3
	ds_write_b16 v7, v8
	v_lshrrev_b32_e32 v8, 3, v4
	v_lshlrev_b32_e32 v4, 7, v4
	v_and_or_b32 v4, v4, s1, v0
	v_lshlrev_b32_e32 v4, 1, v4
	v_add_lshl_u32 v8, v4, v8, 1
	ds_read_u16 v4, v8
	v_cndmask_b32_e64 v5, v5, 0, s[4:5]
	s_waitcnt lgkmcnt(0)
	v_add_u16_e32 v9, 1, v4
	ds_write_b16 v8, v9
	v_lshrrev_b32_e32 v9, 3, v5
	v_lshlrev_b32_e32 v5, 7, v5
	v_and_or_b32 v5, v5, s1, v0
	v_lshlrev_b32_e32 v5, 1, v5
	v_add_lshl_u32 v9, v5, v9, 1
	ds_read_u16 v5, v9
	s_waitcnt lgkmcnt(0)
	v_add_u16_e32 v10, 1, v5
	ds_write_b16 v9, v10
	v_lshlrev_b32_e32 v10, 5, v0
	s_waitcnt lgkmcnt(0)
	s_barrier
	ds_read2_b32 v[12:13], v10 offset1:1
	ds_read2_b32 v[14:15], v10 offset0:2 offset1:3
	ds_read2_b32 v[16:17], v10 offset0:4 offset1:5
	;; [unrolled: 1-line block ×3, first 2 shown]
	s_waitcnt lgkmcnt(3)
	v_add_u32_e32 v11, v13, v12
	s_waitcnt lgkmcnt(2)
	v_add3_u32 v11, v11, v14, v15
	s_waitcnt lgkmcnt(1)
	v_add3_u32 v11, v11, v16, v17
	;; [unrolled: 2-line block ×3, first 2 shown]
	v_mbcnt_lo_u32_b32 v11, -1, 0
	v_mbcnt_hi_u32_b32 v11, -1, v11
	v_and_b32_e32 v13, 15, v11
	v_mov_b32_dpp v14, v12 row_shr:1 row_mask:0xf bank_mask:0xf
	v_cmp_ne_u32_e32 vcc, 0, v13
	v_cndmask_b32_e32 v14, 0, v14, vcc
	v_add_u32_e32 v12, v14, v12
	v_cmp_lt_u32_e32 vcc, 1, v13
	s_nop 0
	v_mov_b32_dpp v14, v12 row_shr:2 row_mask:0xf bank_mask:0xf
	v_cndmask_b32_e32 v14, 0, v14, vcc
	v_add_u32_e32 v12, v12, v14
	v_cmp_lt_u32_e32 vcc, 3, v13
	s_nop 0
	v_mov_b32_dpp v14, v12 row_shr:4 row_mask:0xf bank_mask:0xf
	;; [unrolled: 5-line block ×3, first 2 shown]
	v_cndmask_b32_e32 v13, 0, v14, vcc
	v_add_u32_e32 v12, v12, v13
	v_bfe_i32 v14, v11, 4, 1
	v_cmp_lt_u32_e32 vcc, 31, v11
	v_mov_b32_dpp v13, v12 row_bcast:15 row_mask:0xf bank_mask:0xf
	v_and_b32_e32 v13, v14, v13
	v_add_u32_e32 v12, v12, v13
	v_or_b32_e32 v14, 63, v0
	s_nop 0
	v_mov_b32_dpp v13, v12 row_bcast:31 row_mask:0xf bank_mask:0xf
	v_cndmask_b32_e32 v13, 0, v13, vcc
	v_add_u32_e32 v12, v12, v13
	v_lshrrev_b32_e32 v13, 6, v0
	v_cmp_eq_u32_e32 vcc, v14, v0
	v_lshlrev_b32_e32 v13, 2, v13
	s_and_saveexec_b64 s[0:1], vcc
	s_cbranch_execz .LBB13_8
; %bb.7:
	ds_write_b32 v13, v12 offset:4096
.LBB13_8:
	s_or_b64 exec, exec, s[0:1]
	v_cmp_gt_u32_e32 vcc, 2, v0
	s_waitcnt lgkmcnt(0)
	s_barrier
	s_and_saveexec_b64 s[0:1], vcc
	s_cbranch_execz .LBB13_10
; %bb.9:
	ds_read_b32 v14, v6 offset:4096
	v_bfe_i32 v15, v11, 0, 1
	s_waitcnt lgkmcnt(0)
	v_mov_b32_dpp v16, v14 row_shr:1 row_mask:0xf bank_mask:0xf
	v_and_b32_e32 v15, v15, v16
	v_add_u32_e32 v14, v15, v14
	ds_write_b32 v6, v14 offset:4096
.LBB13_10:
	s_or_b64 exec, exec, s[0:1]
	v_cmp_lt_u32_e32 vcc, 63, v0
	v_mov_b32_e32 v0, 0
	v_mov_b32_e32 v14, 0
	s_waitcnt lgkmcnt(0)
	s_barrier
	s_and_saveexec_b64 s[0:1], vcc
	s_cbranch_execz .LBB13_12
; %bb.11:
	ds_read_b32 v14, v13 offset:4092
.LBB13_12:
	s_or_b64 exec, exec, s[0:1]
	v_add_u32_e32 v13, -1, v11
	v_and_b32_e32 v15, 64, v11
	v_cmp_lt_i32_e32 vcc, v13, v15
	v_cndmask_b32_e32 v13, v13, v11, vcc
	s_waitcnt lgkmcnt(0)
	v_add_u32_e32 v12, v14, v12
	v_lshlrev_b32_e32 v13, 2, v13
	ds_bpermute_b32 v12, v13, v12
	ds_read_b32 v0, v0 offset:4100
	v_cmp_eq_u32_e32 vcc, 0, v11
	s_add_u32 s0, s2, s6
	s_addc_u32 s1, s3, s7
	s_waitcnt lgkmcnt(1)
	v_cndmask_b32_e32 v11, v12, v14, vcc
	ds_read2_b32 v[12:13], v10 offset1:1
	s_waitcnt lgkmcnt(1)
	v_lshl_add_u32 v0, v0, 16, v11
	ds_read2_b32 v[14:15], v10 offset0:2 offset1:3
	ds_read2_b32 v[16:17], v10 offset0:4 offset1:5
	ds_read_b32 v11, v10 offset:24
	s_waitcnt lgkmcnt(3)
	v_add_u32_e32 v12, v0, v12
	ds_write2_b32 v10, v0, v12 offset1:1
	v_add_u32_e32 v0, v13, v12
	s_waitcnt lgkmcnt(3)
	v_add_u32_e32 v12, v14, v0
	ds_write2_b32 v10, v0, v12 offset0:2 offset1:3
	v_add_u32_e32 v0, v15, v12
	s_waitcnt lgkmcnt(3)
	v_add_u32_e32 v12, v16, v0
	ds_write2_b32 v10, v0, v12 offset0:4 offset1:5
	;; [unrolled: 4-line block ×3, first 2 shown]
	s_waitcnt lgkmcnt(0)
	s_barrier
	ds_read_u16 v0, v2
	ds_read_u16 v2, v7
	;; [unrolled: 1-line block ×4, first 2 shown]
	s_waitcnt lgkmcnt(3)
	v_add_u32_sdwa v0, v0, v1 dst_sel:DWORD dst_unused:UNUSED_PAD src0_sel:DWORD src1_sel:WORD_0
	s_waitcnt lgkmcnt(2)
	v_add_u32_sdwa v1, v2, v3 dst_sel:DWORD dst_unused:UNUSED_PAD src0_sel:DWORD src1_sel:WORD_0
	;; [unrolled: 2-line block ×4, first 2 shown]
	v_lshlrev_b32_e32 v4, 2, v6
	global_store_dwordx4 v4, v[0:3], s[0:1]
	s_endpgm
	.section	.rodata,"a",@progbits
	.p2align	6, 0x0
	.amdhsa_kernel _Z11rank_kernelILj128ELj4ELj4ELb0EL18RadixRankAlgorithm0EiEvPKT4_Pijj
		.amdhsa_group_segment_fixed_size 4112
		.amdhsa_private_segment_fixed_size 0
		.amdhsa_kernarg_size 24
		.amdhsa_user_sgpr_count 6
		.amdhsa_user_sgpr_private_segment_buffer 1
		.amdhsa_user_sgpr_dispatch_ptr 0
		.amdhsa_user_sgpr_queue_ptr 0
		.amdhsa_user_sgpr_kernarg_segment_ptr 1
		.amdhsa_user_sgpr_dispatch_id 0
		.amdhsa_user_sgpr_flat_scratch_init 0
		.amdhsa_user_sgpr_kernarg_preload_length 0
		.amdhsa_user_sgpr_kernarg_preload_offset 0
		.amdhsa_user_sgpr_private_segment_size 0
		.amdhsa_uses_dynamic_stack 0
		.amdhsa_system_sgpr_private_segment_wavefront_offset 0
		.amdhsa_system_sgpr_workgroup_id_x 1
		.amdhsa_system_sgpr_workgroup_id_y 0
		.amdhsa_system_sgpr_workgroup_id_z 0
		.amdhsa_system_sgpr_workgroup_info 0
		.amdhsa_system_vgpr_workitem_id 0
		.amdhsa_next_free_vgpr 20
		.amdhsa_next_free_sgpr 16
		.amdhsa_accum_offset 20
		.amdhsa_reserve_vcc 1
		.amdhsa_reserve_flat_scratch 0
		.amdhsa_float_round_mode_32 0
		.amdhsa_float_round_mode_16_64 0
		.amdhsa_float_denorm_mode_32 3
		.amdhsa_float_denorm_mode_16_64 3
		.amdhsa_dx10_clamp 1
		.amdhsa_ieee_mode 1
		.amdhsa_fp16_overflow 0
		.amdhsa_tg_split 0
		.amdhsa_exception_fp_ieee_invalid_op 0
		.amdhsa_exception_fp_denorm_src 0
		.amdhsa_exception_fp_ieee_div_zero 0
		.amdhsa_exception_fp_ieee_overflow 0
		.amdhsa_exception_fp_ieee_underflow 0
		.amdhsa_exception_fp_ieee_inexact 0
		.amdhsa_exception_int_div_zero 0
	.end_amdhsa_kernel
	.section	.text._Z11rank_kernelILj128ELj4ELj4ELb0EL18RadixRankAlgorithm0EiEvPKT4_Pijj,"axG",@progbits,_Z11rank_kernelILj128ELj4ELj4ELb0EL18RadixRankAlgorithm0EiEvPKT4_Pijj,comdat
.Lfunc_end13:
	.size	_Z11rank_kernelILj128ELj4ELj4ELb0EL18RadixRankAlgorithm0EiEvPKT4_Pijj, .Lfunc_end13-_Z11rank_kernelILj128ELj4ELj4ELb0EL18RadixRankAlgorithm0EiEvPKT4_Pijj
                                        ; -- End function
	.section	.AMDGPU.csdata,"",@progbits
; Kernel info:
; codeLenInByte = 1224
; NumSgprs: 20
; NumVgprs: 20
; NumAgprs: 0
; TotalNumVgprs: 20
; ScratchSize: 0
; MemoryBound: 0
; FloatMode: 240
; IeeeMode: 1
; LDSByteSize: 4112 bytes/workgroup (compile time only)
; SGPRBlocks: 2
; VGPRBlocks: 2
; NumSGPRsForWavesPerEU: 20
; NumVGPRsForWavesPerEU: 20
; AccumOffset: 20
; Occupancy: 8
; WaveLimiterHint : 0
; COMPUTE_PGM_RSRC2:SCRATCH_EN: 0
; COMPUTE_PGM_RSRC2:USER_SGPR: 6
; COMPUTE_PGM_RSRC2:TRAP_HANDLER: 0
; COMPUTE_PGM_RSRC2:TGID_X_EN: 1
; COMPUTE_PGM_RSRC2:TGID_Y_EN: 0
; COMPUTE_PGM_RSRC2:TGID_Z_EN: 0
; COMPUTE_PGM_RSRC2:TIDIG_COMP_CNT: 0
; COMPUTE_PGM_RSRC3_GFX90A:ACCUM_OFFSET: 4
; COMPUTE_PGM_RSRC3_GFX90A:TG_SPLIT: 0
	.section	.text._Z11rank_kernelILj64ELj2ELj4ELb1EL18RadixRankAlgorithm0EyEvPKT4_Pijj,"axG",@progbits,_Z11rank_kernelILj64ELj2ELj4ELb1EL18RadixRankAlgorithm0EyEvPKT4_Pijj,comdat
	.protected	_Z11rank_kernelILj64ELj2ELj4ELb1EL18RadixRankAlgorithm0EyEvPKT4_Pijj ; -- Begin function _Z11rank_kernelILj64ELj2ELj4ELb1EL18RadixRankAlgorithm0EyEvPKT4_Pijj
	.globl	_Z11rank_kernelILj64ELj2ELj4ELb1EL18RadixRankAlgorithm0EyEvPKT4_Pijj
	.p2align	8
	.type	_Z11rank_kernelILj64ELj2ELj4ELb1EL18RadixRankAlgorithm0EyEvPKT4_Pijj,@function
_Z11rank_kernelILj64ELj2ELj4ELb1EL18RadixRankAlgorithm0EyEvPKT4_Pijj: ; @_Z11rank_kernelILj64ELj2ELj4ELb1EL18RadixRankAlgorithm0EyEvPKT4_Pijj
; %bb.0:
	s_load_dwordx4 s[0:3], s[4:5], 0x0
	s_lshl_b32 s6, s6, 7
	s_mov_b32 s7, 0
	s_lshl_b64 s[8:9], s[6:7], 3
	v_lshlrev_b32_e32 v1, 4, v0
	s_waitcnt lgkmcnt(0)
	s_add_u32 s0, s0, s8
	s_addc_u32 s1, s1, s9
	global_load_dwordx4 v[2:5], v1, s[0:1]
	s_movk_i32 s0, 0x200
	v_lshlrev_b32_e32 v8, 1, v0
	v_cmp_gt_u32_e32 vcc, s0, v0
	s_and_saveexec_b64 s[0:1], vcc
	s_cbranch_execz .LBB14_7
; %bb.1:
	v_or_b32_e32 v1, 64, v0
	s_mov_b64 s[8:9], 0
	v_mov_b32_e32 v9, 0
	s_mov_b32 s14, s7
	v_pk_mov_b32 v[6:7], v[0:1], v[0:1] op_sel:[0,1]
	s_branch .LBB14_3
.LBB14_2:                               ;   in Loop: Header=BB14_3 Depth=1
	s_or_b64 exec, exec, s[12:13]
	s_add_i32 s14, s14, 2
	v_cmp_eq_u32_e64 s[10:11], 8, s14
	v_add_u32_e32 v7, 0x80, v7
	s_or_b64 s[8:9], s[10:11], s[8:9]
	v_add_u32_e32 v6, 0x80, v6
	s_andn2_b64 exec, exec, s[8:9]
	s_cbranch_execz .LBB14_7
.LBB14_3:                               ; =>This Inner Loop Header: Depth=1
	s_or_b32 s10, s14, 1
	v_cmp_le_u32_e64 s[10:11], s10, 7
	v_cmp_le_u32_e64 s[16:17], s14, 7
	s_and_saveexec_b64 s[12:13], s[16:17]
	s_cbranch_execz .LBB14_5
; %bb.4:                                ;   in Loop: Header=BB14_3 Depth=1
	v_lshlrev_b32_e32 v1, 2, v6
	ds_write_b32 v1, v9
.LBB14_5:                               ;   in Loop: Header=BB14_3 Depth=1
	s_or_b64 exec, exec, s[12:13]
	s_and_saveexec_b64 s[12:13], s[10:11]
	s_cbranch_execz .LBB14_2
; %bb.6:                                ;   in Loop: Header=BB14_3 Depth=1
	v_lshlrev_b32_e32 v1, 2, v7
	ds_write_b32 v1, v9
	s_branch .LBB14_2
.LBB14_7:
	s_or_b64 exec, exec, s[0:1]
	s_load_dwordx2 s[0:1], s[4:5], 0x10
	s_movk_i32 s8, 0x1c0
	s_waitcnt lgkmcnt(0)
	s_and_b32 s1, s1, 63
	s_cmp_eq_u32 s1, 0
	s_cselect_b64 s[4:5], -1, 0
	s_and_b32 s0, s0, 63
	s_add_i32 s0, s0, s1
	s_sub_i32 s0, 64, s0
	s_sub_i32 s9, 64, s1
	s_waitcnt vmcnt(0)
	v_lshlrev_b64 v[2:3], s0, v[2:3]
	v_lshrrev_b64 v[2:3], s9, v[2:3]
	v_xor_b32_e32 v1, 15, v2
	v_cndmask_b32_e64 v1, v1, 15, s[4:5]
	v_lshrrev_b32_e32 v2, 3, v1
	v_lshlrev_b32_e32 v1, 6, v1
	v_and_or_b32 v1, v1, s8, v0
	v_lshlrev_b32_e32 v1, 1, v1
	v_add_lshl_u32 v2, v1, v2, 1
	ds_read_u16 v1, v2
	v_lshlrev_b64 v[4:5], s0, v[4:5]
	v_lshrrev_b64 v[4:5], s9, v[4:5]
	v_xor_b32_e32 v3, 15, v4
	v_cndmask_b32_e64 v3, v3, 15, s[4:5]
	s_waitcnt lgkmcnt(0)
	v_add_u16_e32 v4, 1, v1
	ds_write_b16 v2, v4
	v_lshrrev_b32_e32 v4, 3, v3
	v_lshlrev_b32_e32 v3, 6, v3
	v_and_or_b32 v3, v3, s8, v0
	v_lshlrev_b32_e32 v3, 1, v3
	v_add_lshl_u32 v4, v3, v4, 1
	ds_read_u16 v3, v4
	s_waitcnt lgkmcnt(0)
	v_add_u16_e32 v5, 1, v3
	ds_write_b16 v4, v5
	v_lshlrev_b32_e32 v5, 5, v0
	s_waitcnt lgkmcnt(0)
	; wave barrier
	s_waitcnt lgkmcnt(0)
	ds_read2_b32 v[6:7], v5 offset1:1
	ds_read2_b32 v[10:11], v5 offset0:2 offset1:3
	ds_read2_b32 v[12:13], v5 offset0:4 offset1:5
	;; [unrolled: 1-line block ×3, first 2 shown]
	s_waitcnt lgkmcnt(3)
	v_add_u32_e32 v6, v7, v6
	s_waitcnt lgkmcnt(2)
	v_add3_u32 v6, v6, v10, v11
	s_waitcnt lgkmcnt(1)
	v_add3_u32 v6, v6, v12, v13
	s_waitcnt lgkmcnt(0)
	v_add3_u32 v7, v6, v14, v15
	v_mbcnt_lo_u32_b32 v6, -1, 0
	v_mbcnt_hi_u32_b32 v6, -1, v6
	v_and_b32_e32 v9, 15, v6
	v_mov_b32_dpp v10, v7 row_shr:1 row_mask:0xf bank_mask:0xf
	v_cmp_ne_u32_e32 vcc, 0, v9
	v_cndmask_b32_e32 v10, 0, v10, vcc
	v_add_u32_e32 v7, v10, v7
	v_cmp_lt_u32_e32 vcc, 1, v9
	s_nop 0
	v_mov_b32_dpp v10, v7 row_shr:2 row_mask:0xf bank_mask:0xf
	v_cndmask_b32_e32 v10, 0, v10, vcc
	v_add_u32_e32 v7, v7, v10
	v_cmp_lt_u32_e32 vcc, 3, v9
	s_nop 0
	v_mov_b32_dpp v10, v7 row_shr:4 row_mask:0xf bank_mask:0xf
	;; [unrolled: 5-line block ×3, first 2 shown]
	v_cndmask_b32_e32 v9, 0, v10, vcc
	v_add_u32_e32 v7, v7, v9
	v_bfe_i32 v10, v6, 4, 1
	v_cmp_lt_u32_e32 vcc, 31, v6
	v_mov_b32_dpp v9, v7 row_bcast:15 row_mask:0xf bank_mask:0xf
	v_and_b32_e32 v9, v10, v9
	v_add_u32_e32 v7, v7, v9
	s_nop 1
	v_mov_b32_dpp v9, v7 row_bcast:31 row_mask:0xf bank_mask:0xf
	v_cndmask_b32_e32 v9, 0, v9, vcc
	v_add_u32_e32 v7, v7, v9
	v_cmp_eq_u32_e32 vcc, 63, v0
	s_and_saveexec_b64 s[0:1], vcc
	s_cbranch_execz .LBB14_9
; %bb.8:
	v_mov_b32_e32 v0, 0
	ds_write_b32 v0, v7 offset:2048
.LBB14_9:
	s_or_b64 exec, exec, s[0:1]
	v_add_u32_e32 v0, -1, v6
	v_and_b32_e32 v9, 64, v6
	v_cmp_lt_i32_e32 vcc, v0, v9
	v_cndmask_b32_e32 v0, v0, v6, vcc
	v_lshlrev_b32_e32 v0, 2, v0
	ds_bpermute_b32 v0, v0, v7
	v_mov_b32_e32 v7, 0
	s_waitcnt lgkmcnt(0)
	; wave barrier
	s_waitcnt lgkmcnt(0)
	ds_read_b32 v9, v7 offset:2048
	v_cmp_ne_u32_e32 vcc, 0, v6
	ds_read2_b32 v[6:7], v5 offset1:1
	v_cndmask_b32_e32 v0, 0, v0, vcc
	s_lshl_b64 s[0:1], s[6:7], 2
	s_waitcnt lgkmcnt(1)
	v_lshl_add_u32 v0, v9, 16, v0
	ds_read2_b32 v[10:11], v5 offset0:2 offset1:3
	ds_read2_b32 v[12:13], v5 offset0:4 offset1:5
	ds_read_b32 v9, v5 offset:24
	s_waitcnt lgkmcnt(3)
	v_add_u32_e32 v6, v0, v6
	ds_write2_b32 v5, v0, v6 offset1:1
	v_add_u32_e32 v0, v7, v6
	s_waitcnt lgkmcnt(3)
	v_add_u32_e32 v6, v10, v0
	ds_write2_b32 v5, v0, v6 offset0:2 offset1:3
	v_add_u32_e32 v0, v11, v6
	s_waitcnt lgkmcnt(3)
	v_add_u32_e32 v6, v12, v0
	ds_write2_b32 v5, v0, v6 offset0:4 offset1:5
	;; [unrolled: 4-line block ×3, first 2 shown]
	s_waitcnt lgkmcnt(0)
	; wave barrier
	s_waitcnt lgkmcnt(0)
	ds_read_u16 v0, v2
	ds_read_u16 v2, v4
	s_add_u32 s0, s2, s0
	s_addc_u32 s1, s3, s1
	s_waitcnt lgkmcnt(1)
	v_add_u32_sdwa v0, v0, v1 dst_sel:DWORD dst_unused:UNUSED_PAD src0_sel:DWORD src1_sel:WORD_0
	s_waitcnt lgkmcnt(0)
	v_add_u32_sdwa v1, v2, v3 dst_sel:DWORD dst_unused:UNUSED_PAD src0_sel:DWORD src1_sel:WORD_0
	v_lshlrev_b32_e32 v2, 2, v8
	global_store_dwordx2 v2, v[0:1], s[0:1]
	s_endpgm
	.section	.rodata,"a",@progbits
	.p2align	6, 0x0
	.amdhsa_kernel _Z11rank_kernelILj64ELj2ELj4ELb1EL18RadixRankAlgorithm0EyEvPKT4_Pijj
		.amdhsa_group_segment_fixed_size 2064
		.amdhsa_private_segment_fixed_size 0
		.amdhsa_kernarg_size 24
		.amdhsa_user_sgpr_count 6
		.amdhsa_user_sgpr_private_segment_buffer 1
		.amdhsa_user_sgpr_dispatch_ptr 0
		.amdhsa_user_sgpr_queue_ptr 0
		.amdhsa_user_sgpr_kernarg_segment_ptr 1
		.amdhsa_user_sgpr_dispatch_id 0
		.amdhsa_user_sgpr_flat_scratch_init 0
		.amdhsa_user_sgpr_kernarg_preload_length 0
		.amdhsa_user_sgpr_kernarg_preload_offset 0
		.amdhsa_user_sgpr_private_segment_size 0
		.amdhsa_uses_dynamic_stack 0
		.amdhsa_system_sgpr_private_segment_wavefront_offset 0
		.amdhsa_system_sgpr_workgroup_id_x 1
		.amdhsa_system_sgpr_workgroup_id_y 0
		.amdhsa_system_sgpr_workgroup_id_z 0
		.amdhsa_system_sgpr_workgroup_info 0
		.amdhsa_system_vgpr_workitem_id 0
		.amdhsa_next_free_vgpr 16
		.amdhsa_next_free_sgpr 18
		.amdhsa_accum_offset 16
		.amdhsa_reserve_vcc 1
		.amdhsa_reserve_flat_scratch 0
		.amdhsa_float_round_mode_32 0
		.amdhsa_float_round_mode_16_64 0
		.amdhsa_float_denorm_mode_32 3
		.amdhsa_float_denorm_mode_16_64 3
		.amdhsa_dx10_clamp 1
		.amdhsa_ieee_mode 1
		.amdhsa_fp16_overflow 0
		.amdhsa_tg_split 0
		.amdhsa_exception_fp_ieee_invalid_op 0
		.amdhsa_exception_fp_denorm_src 0
		.amdhsa_exception_fp_ieee_div_zero 0
		.amdhsa_exception_fp_ieee_overflow 0
		.amdhsa_exception_fp_ieee_underflow 0
		.amdhsa_exception_fp_ieee_inexact 0
		.amdhsa_exception_int_div_zero 0
	.end_amdhsa_kernel
	.section	.text._Z11rank_kernelILj64ELj2ELj4ELb1EL18RadixRankAlgorithm0EyEvPKT4_Pijj,"axG",@progbits,_Z11rank_kernelILj64ELj2ELj4ELb1EL18RadixRankAlgorithm0EyEvPKT4_Pijj,comdat
.Lfunc_end14:
	.size	_Z11rank_kernelILj64ELj2ELj4ELb1EL18RadixRankAlgorithm0EyEvPKT4_Pijj, .Lfunc_end14-_Z11rank_kernelILj64ELj2ELj4ELb1EL18RadixRankAlgorithm0EyEvPKT4_Pijj
                                        ; -- End function
	.section	.AMDGPU.csdata,"",@progbits
; Kernel info:
; codeLenInByte = 944
; NumSgprs: 22
; NumVgprs: 16
; NumAgprs: 0
; TotalNumVgprs: 16
; ScratchSize: 0
; MemoryBound: 0
; FloatMode: 240
; IeeeMode: 1
; LDSByteSize: 2064 bytes/workgroup (compile time only)
; SGPRBlocks: 2
; VGPRBlocks: 1
; NumSGPRsForWavesPerEU: 22
; NumVGPRsForWavesPerEU: 16
; AccumOffset: 16
; Occupancy: 8
; WaveLimiterHint : 0
; COMPUTE_PGM_RSRC2:SCRATCH_EN: 0
; COMPUTE_PGM_RSRC2:USER_SGPR: 6
; COMPUTE_PGM_RSRC2:TRAP_HANDLER: 0
; COMPUTE_PGM_RSRC2:TGID_X_EN: 1
; COMPUTE_PGM_RSRC2:TGID_Y_EN: 0
; COMPUTE_PGM_RSRC2:TGID_Z_EN: 0
; COMPUTE_PGM_RSRC2:TIDIG_COMP_CNT: 0
; COMPUTE_PGM_RSRC3_GFX90A:ACCUM_OFFSET: 3
; COMPUTE_PGM_RSRC3_GFX90A:TG_SPLIT: 0
	.section	.text._Z11rank_kernelILj255ELj1ELj4ELb0EL18RadixRankAlgorithm0EhEvPKT4_Pijj,"axG",@progbits,_Z11rank_kernelILj255ELj1ELj4ELb0EL18RadixRankAlgorithm0EhEvPKT4_Pijj,comdat
	.protected	_Z11rank_kernelILj255ELj1ELj4ELb0EL18RadixRankAlgorithm0EhEvPKT4_Pijj ; -- Begin function _Z11rank_kernelILj255ELj1ELj4ELb0EL18RadixRankAlgorithm0EhEvPKT4_Pijj
	.globl	_Z11rank_kernelILj255ELj1ELj4ELb0EL18RadixRankAlgorithm0EhEvPKT4_Pijj
	.p2align	8
	.type	_Z11rank_kernelILj255ELj1ELj4ELb0EL18RadixRankAlgorithm0EhEvPKT4_Pijj,@function
_Z11rank_kernelILj255ELj1ELj4ELb0EL18RadixRankAlgorithm0EhEvPKT4_Pijj: ; @_Z11rank_kernelILj255ELj1ELj4ELb0EL18RadixRankAlgorithm0EhEvPKT4_Pijj
; %bb.0:
	s_load_dwordx4 s[0:3], s[4:5], 0x0
	s_mulk_i32 s6, 0xff
	v_sub_u32_e32 v1, 0x6f8, v0
	s_mov_b32 s7, 0
	v_mov_b32_e32 v7, 0
	s_waitcnt lgkmcnt(0)
	s_add_u32 s0, s0, s6
	s_addc_u32 s1, s1, 0
	global_load_ubyte v6, v0, s[0:1]
	s_mov_b32 s0, 0x1010102
	v_mul_hi_u32 v1, v1, s0
	v_add_u32_e32 v2, 3, v1
	v_and_b32_e32 v8, 30, v2
	v_add_u32_e32 v2, 1, v1
	v_add_u32_e32 v1, 0xff, v0
	v_mov_b32_e32 v3, v2
	s_mov_b64 s[8:9], 0
	s_mov_b32 s12, s7
	v_pk_mov_b32 v[4:5], v[0:1], v[0:1] op_sel:[0,1]
	s_branch .LBB15_2
.LBB15_1:                               ;   in Loop: Header=BB15_2 Depth=1
	s_or_b64 exec, exec, s[0:1]
	s_add_i32 s12, s12, 2
	v_cmp_eq_u32_e32 vcc, s12, v8
	v_add_u32_e32 v5, 0x1fe, v5
	s_or_b64 s[8:9], vcc, s[8:9]
	v_add_u32_e32 v4, 0x1fe, v4
	s_andn2_b64 exec, exec, s[8:9]
	s_cbranch_execz .LBB15_6
.LBB15_2:                               ; =>This Inner Loop Header: Depth=1
	s_or_b32 s0, s12, 1
	v_cmp_le_u32_e32 vcc, s0, v3
	v_cmp_le_u32_e64 s[0:1], s12, v2
	s_and_saveexec_b64 s[10:11], s[0:1]
	s_cbranch_execz .LBB15_4
; %bb.3:                                ;   in Loop: Header=BB15_2 Depth=1
	v_lshlrev_b32_e32 v1, 2, v4
	ds_write_b32 v1, v7
.LBB15_4:                               ;   in Loop: Header=BB15_2 Depth=1
	s_or_b64 exec, exec, s[10:11]
	s_and_saveexec_b64 s[0:1], vcc
	s_cbranch_execz .LBB15_1
; %bb.5:                                ;   in Loop: Header=BB15_2 Depth=1
	v_lshlrev_b32_e32 v1, 2, v5
	ds_write_b32 v1, v7
	s_branch .LBB15_1
.LBB15_6:
	s_or_b64 exec, exec, s[8:9]
	s_load_dwordx2 s[0:1], s[4:5], 0x10
	s_waitcnt lgkmcnt(0)
	s_and_b32 s1, s1, 31
	s_and_b32 s0, s0, 31
	s_add_i32 s0, s0, s1
	s_sub_i32 s4, 32, s1
	s_sub_i32 s0, 32, s0
	s_waitcnt vmcnt(0)
	v_lshlrev_b32_sdwa v1, s0, v6 dst_sel:DWORD dst_unused:UNUSED_PAD src0_sel:DWORD src1_sel:BYTE_0
	s_cmp_lg_u32 s1, 0
	v_bfe_u32 v1, v1, s4, 8
	s_cselect_b64 vcc, -1, 0
	v_cndmask_b32_e32 v1, 0, v1, vcc
	v_and_b32_e32 v2, 7, v1
	v_mul_u32_u24_e32 v2, 0xff, v2
	v_lshrrev_b32_e32 v1, 3, v1
	v_add_lshl_u32 v2, v2, v0, 1
	v_add_lshl_u32 v1, v2, v1, 1
	ds_read_u16 v2, v1
	s_waitcnt lgkmcnt(0)
	v_add_u16_e32 v3, 1, v2
	ds_write_b16 v1, v3
	v_lshlrev_b32_e32 v3, 5, v0
	s_waitcnt lgkmcnt(0)
	s_barrier
	ds_read2_b32 v[4:5], v3 offset1:1
	ds_read2_b32 v[6:7], v3 offset0:2 offset1:3
	ds_read2_b32 v[8:9], v3 offset0:4 offset1:5
	;; [unrolled: 1-line block ×3, first 2 shown]
	s_waitcnt lgkmcnt(3)
	v_add_u32_e32 v4, v5, v4
	s_waitcnt lgkmcnt(2)
	v_add3_u32 v4, v4, v6, v7
	s_waitcnt lgkmcnt(1)
	v_add3_u32 v4, v4, v8, v9
	;; [unrolled: 2-line block ×3, first 2 shown]
	v_mbcnt_lo_u32_b32 v4, -1, 0
	v_mbcnt_hi_u32_b32 v4, -1, v4
	v_and_b32_e32 v6, 15, v4
	v_mov_b32_dpp v7, v5 row_shr:1 row_mask:0xf bank_mask:0xf
	v_cmp_ne_u32_e32 vcc, 0, v6
	v_cndmask_b32_e32 v7, 0, v7, vcc
	v_add_u32_e32 v5, v7, v5
	v_cmp_lt_u32_e32 vcc, 1, v6
	s_nop 0
	v_mov_b32_dpp v7, v5 row_shr:2 row_mask:0xf bank_mask:0xf
	v_cndmask_b32_e32 v7, 0, v7, vcc
	v_add_u32_e32 v5, v5, v7
	v_cmp_lt_u32_e32 vcc, 3, v6
	s_nop 0
	v_mov_b32_dpp v7, v5 row_shr:4 row_mask:0xf bank_mask:0xf
	;; [unrolled: 5-line block ×3, first 2 shown]
	v_cndmask_b32_e32 v6, 0, v7, vcc
	v_add_u32_e32 v5, v5, v6
	v_bfe_i32 v7, v4, 4, 1
	v_cmp_lt_u32_e32 vcc, 31, v4
	v_mov_b32_dpp v6, v5 row_bcast:15 row_mask:0xf bank_mask:0xf
	v_and_b32_e32 v6, v7, v6
	v_add_u32_e32 v5, v5, v6
	v_and_b32_e32 v7, 0xc0, v0
	v_min_u32_e32 v7, 0xbf, v7
	v_mov_b32_dpp v6, v5 row_bcast:31 row_mask:0xf bank_mask:0xf
	v_cndmask_b32_e32 v6, 0, v6, vcc
	v_add_u32_e32 v6, v5, v6
	v_lshrrev_b32_e32 v5, 6, v0
	v_add_u32_e32 v7, 63, v7
	v_cmp_eq_u32_e32 vcc, v7, v0
	v_lshlrev_b32_e32 v7, 2, v5
	s_and_saveexec_b64 s[0:1], vcc
	s_cbranch_execz .LBB15_8
; %bb.7:
	ds_write_b32 v7, v6 offset:8160
.LBB15_8:
	s_or_b64 exec, exec, s[0:1]
	v_cmp_gt_u32_e32 vcc, 4, v0
	v_lshlrev_b32_e32 v5, 2, v0
	s_waitcnt lgkmcnt(0)
	s_barrier
	s_and_saveexec_b64 s[0:1], vcc
	s_cbranch_execz .LBB15_10
; %bb.9:
	ds_read_b32 v8, v5 offset:8160
	v_and_b32_e32 v9, 3, v4
	v_cmp_ne_u32_e32 vcc, 0, v9
	s_waitcnt lgkmcnt(0)
	v_mov_b32_dpp v10, v8 row_shr:1 row_mask:0xf bank_mask:0xf
	v_cndmask_b32_e32 v10, 0, v10, vcc
	v_add_u32_e32 v8, v10, v8
	v_cmp_lt_u32_e32 vcc, 1, v9
	s_nop 0
	v_mov_b32_dpp v10, v8 row_shr:2 row_mask:0xf bank_mask:0xf
	v_cndmask_b32_e32 v9, 0, v10, vcc
	v_add_u32_e32 v8, v8, v9
	ds_write_b32 v5, v8 offset:8160
.LBB15_10:
	s_or_b64 exec, exec, s[0:1]
	v_cmp_lt_u32_e32 vcc, 63, v0
	v_mov_b32_e32 v0, 0
	v_mov_b32_e32 v8, 0
	s_waitcnt lgkmcnt(0)
	s_barrier
	s_and_saveexec_b64 s[0:1], vcc
	s_cbranch_execz .LBB15_12
; %bb.11:
	ds_read_b32 v8, v7 offset:8156
.LBB15_12:
	s_or_b64 exec, exec, s[0:1]
	v_add_u32_e32 v7, -1, v4
	v_and_b32_e32 v9, 64, v4
	v_cmp_lt_i32_e32 vcc, v7, v9
	v_cndmask_b32_e32 v7, v7, v4, vcc
	s_waitcnt lgkmcnt(0)
	v_add_u32_e32 v6, v8, v6
	v_lshlrev_b32_e32 v7, 2, v7
	ds_bpermute_b32 v6, v7, v6
	ds_read_b32 v0, v0 offset:8172
	v_cmp_eq_u32_e32 vcc, 0, v4
	s_lshl_b64 s[0:1], s[6:7], 2
	s_add_u32 s0, s2, s0
	s_waitcnt lgkmcnt(1)
	v_cndmask_b32_e32 v4, v6, v8, vcc
	ds_read2_b32 v[6:7], v3 offset1:1
	s_waitcnt lgkmcnt(1)
	v_lshl_add_u32 v0, v0, 16, v4
	ds_read2_b32 v[8:9], v3 offset0:2 offset1:3
	ds_read2_b32 v[10:11], v3 offset0:4 offset1:5
	ds_read_b32 v4, v3 offset:24
	s_addc_u32 s1, s3, s1
	s_waitcnt lgkmcnt(3)
	v_add_u32_e32 v6, v0, v6
	ds_write2_b32 v3, v0, v6 offset1:1
	v_add_u32_e32 v0, v7, v6
	s_waitcnt lgkmcnt(3)
	v_add_u32_e32 v6, v8, v0
	ds_write2_b32 v3, v0, v6 offset0:2 offset1:3
	v_add_u32_e32 v0, v9, v6
	s_waitcnt lgkmcnt(3)
	v_add_u32_e32 v6, v10, v0
	ds_write2_b32 v3, v0, v6 offset0:4 offset1:5
	;; [unrolled: 4-line block ×3, first 2 shown]
	s_waitcnt lgkmcnt(0)
	s_barrier
	ds_read_u16 v0, v1
	s_waitcnt lgkmcnt(0)
	v_add_u32_sdwa v0, v0, v2 dst_sel:DWORD dst_unused:UNUSED_PAD src0_sel:DWORD src1_sel:WORD_0
	global_store_dword v5, v0, s[0:1]
	s_endpgm
	.section	.rodata,"a",@progbits
	.p2align	6, 0x0
	.amdhsa_kernel _Z11rank_kernelILj255ELj1ELj4ELb0EL18RadixRankAlgorithm0EhEvPKT4_Pijj
		.amdhsa_group_segment_fixed_size 8176
		.amdhsa_private_segment_fixed_size 0
		.amdhsa_kernarg_size 24
		.amdhsa_user_sgpr_count 6
		.amdhsa_user_sgpr_private_segment_buffer 1
		.amdhsa_user_sgpr_dispatch_ptr 0
		.amdhsa_user_sgpr_queue_ptr 0
		.amdhsa_user_sgpr_kernarg_segment_ptr 1
		.amdhsa_user_sgpr_dispatch_id 0
		.amdhsa_user_sgpr_flat_scratch_init 0
		.amdhsa_user_sgpr_kernarg_preload_length 0
		.amdhsa_user_sgpr_kernarg_preload_offset 0
		.amdhsa_user_sgpr_private_segment_size 0
		.amdhsa_uses_dynamic_stack 0
		.amdhsa_system_sgpr_private_segment_wavefront_offset 0
		.amdhsa_system_sgpr_workgroup_id_x 1
		.amdhsa_system_sgpr_workgroup_id_y 0
		.amdhsa_system_sgpr_workgroup_id_z 0
		.amdhsa_system_sgpr_workgroup_info 0
		.amdhsa_system_vgpr_workitem_id 0
		.amdhsa_next_free_vgpr 12
		.amdhsa_next_free_sgpr 13
		.amdhsa_accum_offset 12
		.amdhsa_reserve_vcc 1
		.amdhsa_reserve_flat_scratch 0
		.amdhsa_float_round_mode_32 0
		.amdhsa_float_round_mode_16_64 0
		.amdhsa_float_denorm_mode_32 3
		.amdhsa_float_denorm_mode_16_64 3
		.amdhsa_dx10_clamp 1
		.amdhsa_ieee_mode 1
		.amdhsa_fp16_overflow 0
		.amdhsa_tg_split 0
		.amdhsa_exception_fp_ieee_invalid_op 0
		.amdhsa_exception_fp_denorm_src 0
		.amdhsa_exception_fp_ieee_div_zero 0
		.amdhsa_exception_fp_ieee_overflow 0
		.amdhsa_exception_fp_ieee_underflow 0
		.amdhsa_exception_fp_ieee_inexact 0
		.amdhsa_exception_int_div_zero 0
	.end_amdhsa_kernel
	.section	.text._Z11rank_kernelILj255ELj1ELj4ELb0EL18RadixRankAlgorithm0EhEvPKT4_Pijj,"axG",@progbits,_Z11rank_kernelILj255ELj1ELj4ELb0EL18RadixRankAlgorithm0EhEvPKT4_Pijj,comdat
.Lfunc_end15:
	.size	_Z11rank_kernelILj255ELj1ELj4ELb0EL18RadixRankAlgorithm0EhEvPKT4_Pijj, .Lfunc_end15-_Z11rank_kernelILj255ELj1ELj4ELb0EL18RadixRankAlgorithm0EhEvPKT4_Pijj
                                        ; -- End function
	.section	.AMDGPU.csdata,"",@progbits
; Kernel info:
; codeLenInByte = 996
; NumSgprs: 17
; NumVgprs: 12
; NumAgprs: 0
; TotalNumVgprs: 12
; ScratchSize: 0
; MemoryBound: 0
; FloatMode: 240
; IeeeMode: 1
; LDSByteSize: 8176 bytes/workgroup (compile time only)
; SGPRBlocks: 2
; VGPRBlocks: 1
; NumSGPRsForWavesPerEU: 17
; NumVGPRsForWavesPerEU: 12
; AccumOffset: 12
; Occupancy: 8
; WaveLimiterHint : 0
; COMPUTE_PGM_RSRC2:SCRATCH_EN: 0
; COMPUTE_PGM_RSRC2:USER_SGPR: 6
; COMPUTE_PGM_RSRC2:TRAP_HANDLER: 0
; COMPUTE_PGM_RSRC2:TGID_X_EN: 1
; COMPUTE_PGM_RSRC2:TGID_Y_EN: 0
; COMPUTE_PGM_RSRC2:TGID_Z_EN: 0
; COMPUTE_PGM_RSRC2:TIDIG_COMP_CNT: 0
; COMPUTE_PGM_RSRC3_GFX90A:ACCUM_OFFSET: 2
; COMPUTE_PGM_RSRC3_GFX90A:TG_SPLIT: 0
	.section	.text._Z11rank_kernelILj162ELj1ELj4ELb0EL18RadixRankAlgorithm0EjEvPKT4_Pijj,"axG",@progbits,_Z11rank_kernelILj162ELj1ELj4ELb0EL18RadixRankAlgorithm0EjEvPKT4_Pijj,comdat
	.protected	_Z11rank_kernelILj162ELj1ELj4ELb0EL18RadixRankAlgorithm0EjEvPKT4_Pijj ; -- Begin function _Z11rank_kernelILj162ELj1ELj4ELb0EL18RadixRankAlgorithm0EjEvPKT4_Pijj
	.globl	_Z11rank_kernelILj162ELj1ELj4ELb0EL18RadixRankAlgorithm0EjEvPKT4_Pijj
	.p2align	8
	.type	_Z11rank_kernelILj162ELj1ELj4ELb0EL18RadixRankAlgorithm0EjEvPKT4_Pijj,@function
_Z11rank_kernelILj162ELj1ELj4ELb0EL18RadixRankAlgorithm0EjEvPKT4_Pijj: ; @_Z11rank_kernelILj162ELj1ELj4ELb0EL18RadixRankAlgorithm0EjEvPKT4_Pijj
; %bb.0:
	s_load_dwordx4 s[0:3], s[4:5], 0x0
	s_mul_i32 s8, s6, 0xa2
	s_mov_b32 s9, 0
	s_lshl_b64 s[6:7], s[8:9], 2
	v_lshlrev_b32_e32 v1, 2, v0
	s_waitcnt lgkmcnt(0)
	s_add_u32 s0, s0, s6
	s_addc_u32 s1, s1, s7
	global_load_dword v6, v1, s[0:1]
	v_sub_u32_e32 v1, 0x46d, v0
	s_mov_b32 s0, 0x1948b10
	v_mul_hi_u32 v1, v1, s0
	v_add_u32_e32 v2, 3, v1
	v_and_b32_e32 v8, 30, v2
	v_add_u32_e32 v2, 1, v1
	v_add_u32_e32 v1, 0xa2, v0
	v_mov_b32_e32 v7, 0
	v_mov_b32_e32 v3, v2
	s_mov_b64 s[10:11], 0
	v_pk_mov_b32 v[4:5], v[0:1], v[0:1] op_sel:[0,1]
	s_branch .LBB16_2
.LBB16_1:                               ;   in Loop: Header=BB16_2 Depth=1
	s_or_b64 exec, exec, s[0:1]
	s_add_i32 s9, s9, 2
	v_cmp_eq_u32_e32 vcc, s9, v8
	v_add_u32_e32 v5, 0x144, v5
	s_or_b64 s[10:11], vcc, s[10:11]
	v_add_u32_e32 v4, 0x144, v4
	s_andn2_b64 exec, exec, s[10:11]
	s_cbranch_execz .LBB16_6
.LBB16_2:                               ; =>This Inner Loop Header: Depth=1
	s_or_b32 s0, s9, 1
	v_cmp_le_u32_e32 vcc, s0, v3
	v_cmp_le_u32_e64 s[0:1], s9, v2
	s_and_saveexec_b64 s[12:13], s[0:1]
	s_cbranch_execz .LBB16_4
; %bb.3:                                ;   in Loop: Header=BB16_2 Depth=1
	v_lshlrev_b32_e32 v1, 2, v4
	ds_write_b32 v1, v7
.LBB16_4:                               ;   in Loop: Header=BB16_2 Depth=1
	s_or_b64 exec, exec, s[12:13]
	s_and_saveexec_b64 s[0:1], vcc
	s_cbranch_execz .LBB16_1
; %bb.5:                                ;   in Loop: Header=BB16_2 Depth=1
	v_lshlrev_b32_e32 v1, 2, v5
	ds_write_b32 v1, v7
	s_branch .LBB16_1
.LBB16_6:
	s_or_b64 exec, exec, s[10:11]
	s_load_dwordx2 s[0:1], s[4:5], 0x10
	s_waitcnt lgkmcnt(0)
	s_and_b32 s1, s1, 31
	s_and_b32 s0, s0, 31
	s_add_i32 s0, s0, s1
	s_sub_i32 s4, 32, s1
	s_sub_i32 s0, 32, s0
	s_waitcnt vmcnt(0)
	v_lshlrev_b32_e32 v1, s0, v6
	s_cmp_lg_u32 s1, 0
	v_lshrrev_b32_e32 v1, s4, v1
	s_cselect_b64 vcc, -1, 0
	v_cndmask_b32_e32 v1, 0, v1, vcc
	v_and_b32_e32 v2, 7, v1
	v_mul_u32_u24_e32 v2, 0xa2, v2
	v_lshrrev_b32_e32 v1, 3, v1
	v_add_lshl_u32 v2, v2, v0, 1
	v_add_lshl_u32 v1, v2, v1, 1
	ds_read_u16 v2, v1
	s_waitcnt lgkmcnt(0)
	v_add_u16_e32 v3, 1, v2
	ds_write_b16 v1, v3
	v_lshlrev_b32_e32 v3, 5, v0
	s_waitcnt lgkmcnt(0)
	s_barrier
	ds_read2_b32 v[4:5], v3 offset1:1
	ds_read2_b32 v[6:7], v3 offset0:2 offset1:3
	ds_read2_b32 v[8:9], v3 offset0:4 offset1:5
	;; [unrolled: 1-line block ×3, first 2 shown]
	s_waitcnt lgkmcnt(3)
	v_add_u32_e32 v4, v5, v4
	s_waitcnt lgkmcnt(2)
	v_add3_u32 v4, v4, v6, v7
	s_waitcnt lgkmcnt(1)
	v_add3_u32 v4, v4, v8, v9
	;; [unrolled: 2-line block ×3, first 2 shown]
	v_mbcnt_lo_u32_b32 v4, -1, 0
	v_mbcnt_hi_u32_b32 v4, -1, v4
	v_and_b32_e32 v6, 15, v4
	v_mov_b32_dpp v7, v5 row_shr:1 row_mask:0xf bank_mask:0xf
	v_cmp_ne_u32_e32 vcc, 0, v6
	v_cndmask_b32_e32 v7, 0, v7, vcc
	v_add_u32_e32 v5, v7, v5
	v_cmp_lt_u32_e32 vcc, 1, v6
	s_nop 0
	v_mov_b32_dpp v7, v5 row_shr:2 row_mask:0xf bank_mask:0xf
	v_cndmask_b32_e32 v7, 0, v7, vcc
	v_add_u32_e32 v5, v5, v7
	v_cmp_lt_u32_e32 vcc, 3, v6
	s_nop 0
	v_mov_b32_dpp v7, v5 row_shr:4 row_mask:0xf bank_mask:0xf
	;; [unrolled: 5-line block ×3, first 2 shown]
	v_cndmask_b32_e32 v6, 0, v7, vcc
	v_add_u32_e32 v5, v5, v6
	v_bfe_i32 v7, v4, 4, 1
	v_cmp_lt_u32_e32 vcc, 31, v4
	v_mov_b32_dpp v6, v5 row_bcast:15 row_mask:0xf bank_mask:0xf
	v_and_b32_e32 v6, v7, v6
	v_add_u32_e32 v5, v5, v6
	v_and_b32_e32 v7, 0xc0, v0
	v_min_u32_e32 v7, 0x62, v7
	v_mov_b32_dpp v6, v5 row_bcast:31 row_mask:0xf bank_mask:0xf
	v_cndmask_b32_e32 v6, 0, v6, vcc
	v_add_u32_e32 v6, v5, v6
	v_lshrrev_b32_e32 v5, 6, v0
	v_add_u32_e32 v7, 63, v7
	v_cmp_eq_u32_e32 vcc, v7, v0
	v_lshlrev_b32_e32 v7, 2, v5
	s_and_saveexec_b64 s[0:1], vcc
	s_cbranch_execz .LBB16_8
; %bb.7:
	ds_write_b32 v7, v6 offset:5184
.LBB16_8:
	s_or_b64 exec, exec, s[0:1]
	v_cmp_gt_u32_e32 vcc, 3, v0
	v_lshlrev_b32_e32 v5, 2, v0
	s_waitcnt lgkmcnt(0)
	s_barrier
	s_and_saveexec_b64 s[0:1], vcc
	s_cbranch_execz .LBB16_10
; %bb.9:
	ds_read_b32 v8, v5 offset:5184
	v_and_b32_e32 v9, 3, v4
	v_cmp_ne_u32_e32 vcc, 0, v9
	s_waitcnt lgkmcnt(0)
	v_mov_b32_dpp v10, v8 row_shr:1 row_mask:0xf bank_mask:0xf
	v_cndmask_b32_e32 v10, 0, v10, vcc
	v_add_u32_e32 v8, v10, v8
	v_cmp_lt_u32_e32 vcc, 1, v9
	s_nop 0
	v_mov_b32_dpp v10, v8 row_shr:2 row_mask:0xf bank_mask:0xf
	v_cndmask_b32_e32 v9, 0, v10, vcc
	v_add_u32_e32 v8, v8, v9
	ds_write_b32 v5, v8 offset:5184
.LBB16_10:
	s_or_b64 exec, exec, s[0:1]
	v_cmp_lt_u32_e32 vcc, 63, v0
	v_mov_b32_e32 v0, 0
	v_mov_b32_e32 v8, 0
	s_waitcnt lgkmcnt(0)
	s_barrier
	s_and_saveexec_b64 s[0:1], vcc
	s_cbranch_execz .LBB16_12
; %bb.11:
	ds_read_b32 v8, v7 offset:5180
.LBB16_12:
	s_or_b64 exec, exec, s[0:1]
	v_add_u32_e32 v7, -1, v4
	v_and_b32_e32 v9, 64, v4
	v_cmp_lt_i32_e32 vcc, v7, v9
	v_cndmask_b32_e32 v7, v7, v4, vcc
	s_waitcnt lgkmcnt(0)
	v_add_u32_e32 v6, v8, v6
	v_lshlrev_b32_e32 v7, 2, v7
	ds_bpermute_b32 v6, v7, v6
	ds_read_b32 v0, v0 offset:5192
	v_cmp_eq_u32_e32 vcc, 0, v4
	s_add_u32 s0, s2, s6
	s_addc_u32 s1, s3, s7
	s_waitcnt lgkmcnt(1)
	v_cndmask_b32_e32 v4, v6, v8, vcc
	ds_read2_b32 v[6:7], v3 offset1:1
	s_waitcnt lgkmcnt(1)
	v_lshl_add_u32 v0, v0, 16, v4
	ds_read2_b32 v[8:9], v3 offset0:2 offset1:3
	ds_read2_b32 v[10:11], v3 offset0:4 offset1:5
	ds_read_b32 v4, v3 offset:24
	s_waitcnt lgkmcnt(3)
	v_add_u32_e32 v6, v0, v6
	ds_write2_b32 v3, v0, v6 offset1:1
	v_add_u32_e32 v0, v7, v6
	s_waitcnt lgkmcnt(3)
	v_add_u32_e32 v6, v8, v0
	ds_write2_b32 v3, v0, v6 offset0:2 offset1:3
	v_add_u32_e32 v0, v9, v6
	s_waitcnt lgkmcnt(3)
	v_add_u32_e32 v6, v10, v0
	ds_write2_b32 v3, v0, v6 offset0:4 offset1:5
	;; [unrolled: 4-line block ×3, first 2 shown]
	s_waitcnt lgkmcnt(0)
	s_barrier
	ds_read_u16 v0, v1
	s_waitcnt lgkmcnt(0)
	v_add_u32_sdwa v0, v0, v2 dst_sel:DWORD dst_unused:UNUSED_PAD src0_sel:DWORD src1_sel:WORD_0
	global_store_dword v5, v0, s[0:1]
	s_endpgm
	.section	.rodata,"a",@progbits
	.p2align	6, 0x0
	.amdhsa_kernel _Z11rank_kernelILj162ELj1ELj4ELb0EL18RadixRankAlgorithm0EjEvPKT4_Pijj
		.amdhsa_group_segment_fixed_size 5200
		.amdhsa_private_segment_fixed_size 0
		.amdhsa_kernarg_size 24
		.amdhsa_user_sgpr_count 6
		.amdhsa_user_sgpr_private_segment_buffer 1
		.amdhsa_user_sgpr_dispatch_ptr 0
		.amdhsa_user_sgpr_queue_ptr 0
		.amdhsa_user_sgpr_kernarg_segment_ptr 1
		.amdhsa_user_sgpr_dispatch_id 0
		.amdhsa_user_sgpr_flat_scratch_init 0
		.amdhsa_user_sgpr_kernarg_preload_length 0
		.amdhsa_user_sgpr_kernarg_preload_offset 0
		.amdhsa_user_sgpr_private_segment_size 0
		.amdhsa_uses_dynamic_stack 0
		.amdhsa_system_sgpr_private_segment_wavefront_offset 0
		.amdhsa_system_sgpr_workgroup_id_x 1
		.amdhsa_system_sgpr_workgroup_id_y 0
		.amdhsa_system_sgpr_workgroup_id_z 0
		.amdhsa_system_sgpr_workgroup_info 0
		.amdhsa_system_vgpr_workitem_id 0
		.amdhsa_next_free_vgpr 12
		.amdhsa_next_free_sgpr 14
		.amdhsa_accum_offset 12
		.amdhsa_reserve_vcc 1
		.amdhsa_reserve_flat_scratch 0
		.amdhsa_float_round_mode_32 0
		.amdhsa_float_round_mode_16_64 0
		.amdhsa_float_denorm_mode_32 3
		.amdhsa_float_denorm_mode_16_64 3
		.amdhsa_dx10_clamp 1
		.amdhsa_ieee_mode 1
		.amdhsa_fp16_overflow 0
		.amdhsa_tg_split 0
		.amdhsa_exception_fp_ieee_invalid_op 0
		.amdhsa_exception_fp_denorm_src 0
		.amdhsa_exception_fp_ieee_div_zero 0
		.amdhsa_exception_fp_ieee_overflow 0
		.amdhsa_exception_fp_ieee_underflow 0
		.amdhsa_exception_fp_ieee_inexact 0
		.amdhsa_exception_int_div_zero 0
	.end_amdhsa_kernel
	.section	.text._Z11rank_kernelILj162ELj1ELj4ELb0EL18RadixRankAlgorithm0EjEvPKT4_Pijj,"axG",@progbits,_Z11rank_kernelILj162ELj1ELj4ELb0EL18RadixRankAlgorithm0EjEvPKT4_Pijj,comdat
.Lfunc_end16:
	.size	_Z11rank_kernelILj162ELj1ELj4ELb0EL18RadixRankAlgorithm0EjEvPKT4_Pijj, .Lfunc_end16-_Z11rank_kernelILj162ELj1ELj4ELb0EL18RadixRankAlgorithm0EjEvPKT4_Pijj
                                        ; -- End function
	.section	.AMDGPU.csdata,"",@progbits
; Kernel info:
; codeLenInByte = 992
; NumSgprs: 18
; NumVgprs: 12
; NumAgprs: 0
; TotalNumVgprs: 12
; ScratchSize: 0
; MemoryBound: 0
; FloatMode: 240
; IeeeMode: 1
; LDSByteSize: 5200 bytes/workgroup (compile time only)
; SGPRBlocks: 2
; VGPRBlocks: 1
; NumSGPRsForWavesPerEU: 18
; NumVGPRsForWavesPerEU: 12
; AccumOffset: 12
; Occupancy: 8
; WaveLimiterHint : 0
; COMPUTE_PGM_RSRC2:SCRATCH_EN: 0
; COMPUTE_PGM_RSRC2:USER_SGPR: 6
; COMPUTE_PGM_RSRC2:TRAP_HANDLER: 0
; COMPUTE_PGM_RSRC2:TGID_X_EN: 1
; COMPUTE_PGM_RSRC2:TGID_Y_EN: 0
; COMPUTE_PGM_RSRC2:TGID_Z_EN: 0
; COMPUTE_PGM_RSRC2:TIDIG_COMP_CNT: 0
; COMPUTE_PGM_RSRC3_GFX90A:ACCUM_OFFSET: 2
; COMPUTE_PGM_RSRC3_GFX90A:TG_SPLIT: 0
	.section	.text._Z11rank_kernelILj510ELj1ELj4ELb1EL18RadixRankAlgorithm0ExEvPKT4_Pijj,"axG",@progbits,_Z11rank_kernelILj510ELj1ELj4ELb1EL18RadixRankAlgorithm0ExEvPKT4_Pijj,comdat
	.protected	_Z11rank_kernelILj510ELj1ELj4ELb1EL18RadixRankAlgorithm0ExEvPKT4_Pijj ; -- Begin function _Z11rank_kernelILj510ELj1ELj4ELb1EL18RadixRankAlgorithm0ExEvPKT4_Pijj
	.globl	_Z11rank_kernelILj510ELj1ELj4ELb1EL18RadixRankAlgorithm0ExEvPKT4_Pijj
	.p2align	8
	.type	_Z11rank_kernelILj510ELj1ELj4ELb1EL18RadixRankAlgorithm0ExEvPKT4_Pijj,@function
_Z11rank_kernelILj510ELj1ELj4ELb1EL18RadixRankAlgorithm0ExEvPKT4_Pijj: ; @_Z11rank_kernelILj510ELj1ELj4ELb1EL18RadixRankAlgorithm0ExEvPKT4_Pijj
; %bb.0:
	s_load_dwordx4 s[0:3], s[4:5], 0x0
	s_mulk_i32 s6, 0x1fe
	s_mov_b32 s7, 0
	s_lshl_b64 s[8:9], s[6:7], 3
	v_lshlrev_b32_e32 v1, 3, v0
	s_waitcnt lgkmcnt(0)
	s_add_u32 s0, s0, s8
	s_addc_u32 s1, s1, s9
	global_load_dwordx2 v[2:3], v1, s[0:1]
	v_sub_u32_e32 v1, 0xdf1, v0
	v_mul_hi_u32_u24_e32 v1, 0x808081, v1
	v_add_u32_e32 v4, 3, v1
	v_and_b32_e32 v9, 30, v4
	v_add_u32_e32 v4, 1, v1
	v_add_u32_e32 v1, 0x1fe, v0
	v_mov_b32_e32 v8, 0
	v_mov_b32_e32 v5, v4
	s_mov_b64 s[8:9], 0
	s_mov_b32 s12, s7
	v_pk_mov_b32 v[6:7], v[0:1], v[0:1] op_sel:[0,1]
	s_branch .LBB17_2
.LBB17_1:                               ;   in Loop: Header=BB17_2 Depth=1
	s_or_b64 exec, exec, s[0:1]
	s_add_i32 s12, s12, 2
	v_cmp_eq_u32_e32 vcc, s12, v9
	v_add_u32_e32 v7, 0x3fc, v7
	s_or_b64 s[8:9], vcc, s[8:9]
	v_add_u32_e32 v6, 0x3fc, v6
	s_andn2_b64 exec, exec, s[8:9]
	s_cbranch_execz .LBB17_6
.LBB17_2:                               ; =>This Inner Loop Header: Depth=1
	s_or_b32 s0, s12, 1
	v_cmp_le_u32_e32 vcc, s0, v5
	v_cmp_le_u32_e64 s[0:1], s12, v4
	s_and_saveexec_b64 s[10:11], s[0:1]
	s_cbranch_execz .LBB17_4
; %bb.3:                                ;   in Loop: Header=BB17_2 Depth=1
	v_lshlrev_b32_e32 v1, 2, v6
	ds_write_b32 v1, v8
.LBB17_4:                               ;   in Loop: Header=BB17_2 Depth=1
	s_or_b64 exec, exec, s[10:11]
	s_and_saveexec_b64 s[0:1], vcc
	s_cbranch_execz .LBB17_1
; %bb.5:                                ;   in Loop: Header=BB17_2 Depth=1
	v_lshlrev_b32_e32 v1, 2, v7
	ds_write_b32 v1, v8
	s_branch .LBB17_1
.LBB17_6:
	s_or_b64 exec, exec, s[8:9]
	s_load_dwordx2 s[0:1], s[4:5], 0x10
	s_waitcnt lgkmcnt(0)
	s_and_b32 s1, s1, 63
	s_cmp_eq_u32 s1, 0
	s_cbranch_scc1 .LBB17_8
; %bb.7:
	s_and_b32 s0, s0, 63
	s_add_i32 s0, s0, s1
	s_waitcnt vmcnt(0)
	v_xor_b32_e32 v3, 0x80000000, v3
	s_sub_i32 s0, 64, s0
	v_lshlrev_b64 v[2:3], s0, v[2:3]
	s_sub_i32 s0, 64, s1
	v_lshrrev_b64 v[2:3], s0, v[2:3]
	v_xor_b32_e32 v1, 15, v2
	s_branch .LBB17_9
.LBB17_8:
	v_mov_b32_e32 v1, 15
.LBB17_9:
	s_waitcnt vmcnt(0)
	v_and_b32_e32 v2, 7, v1
	v_mul_u32_u24_e32 v2, 0x1fe, v2
	v_lshrrev_b32_e32 v1, 3, v1
	v_add_lshl_u32 v2, v2, v0, 1
	v_add_lshl_u32 v1, v2, v1, 1
	ds_read_u16 v2, v1
	s_waitcnt lgkmcnt(0)
	v_add_u16_e32 v3, 1, v2
	ds_write_b16 v1, v3
	v_lshlrev_b32_e32 v3, 5, v0
	s_waitcnt lgkmcnt(0)
	s_barrier
	ds_read2_b32 v[4:5], v3 offset1:1
	ds_read2_b32 v[6:7], v3 offset0:2 offset1:3
	ds_read2_b32 v[8:9], v3 offset0:4 offset1:5
	;; [unrolled: 1-line block ×3, first 2 shown]
	s_waitcnt lgkmcnt(3)
	v_add_u32_e32 v4, v5, v4
	s_waitcnt lgkmcnt(2)
	v_add3_u32 v4, v4, v6, v7
	s_waitcnt lgkmcnt(1)
	v_add3_u32 v4, v4, v8, v9
	;; [unrolled: 2-line block ×3, first 2 shown]
	v_mbcnt_lo_u32_b32 v4, -1, 0
	v_mbcnt_hi_u32_b32 v4, -1, v4
	v_and_b32_e32 v6, 15, v4
	v_mov_b32_dpp v7, v5 row_shr:1 row_mask:0xf bank_mask:0xf
	v_cmp_ne_u32_e32 vcc, 0, v6
	v_cndmask_b32_e32 v7, 0, v7, vcc
	v_add_u32_e32 v5, v7, v5
	v_cmp_lt_u32_e32 vcc, 1, v6
	s_nop 0
	v_mov_b32_dpp v7, v5 row_shr:2 row_mask:0xf bank_mask:0xf
	v_cndmask_b32_e32 v7, 0, v7, vcc
	v_add_u32_e32 v5, v5, v7
	v_cmp_lt_u32_e32 vcc, 3, v6
	s_nop 0
	v_mov_b32_dpp v7, v5 row_shr:4 row_mask:0xf bank_mask:0xf
	;; [unrolled: 5-line block ×3, first 2 shown]
	v_cndmask_b32_e32 v6, 0, v7, vcc
	v_add_u32_e32 v5, v5, v6
	v_bfe_i32 v7, v4, 4, 1
	v_cmp_lt_u32_e32 vcc, 31, v4
	v_mov_b32_dpp v6, v5 row_bcast:15 row_mask:0xf bank_mask:0xf
	v_and_b32_e32 v6, v7, v6
	v_add_u32_e32 v5, v5, v6
	v_and_b32_e32 v7, 0x1c0, v0
	v_min_u32_e32 v7, 0x1be, v7
	v_mov_b32_dpp v6, v5 row_bcast:31 row_mask:0xf bank_mask:0xf
	v_cndmask_b32_e32 v6, 0, v6, vcc
	v_add_u32_e32 v6, v5, v6
	v_lshrrev_b32_e32 v5, 6, v0
	v_add_u32_e32 v7, 63, v7
	v_cmp_eq_u32_e32 vcc, v7, v0
	v_lshlrev_b32_e32 v7, 2, v5
	s_and_saveexec_b64 s[0:1], vcc
	s_cbranch_execz .LBB17_11
; %bb.10:
	ds_write_b32 v7, v6 offset:16320
.LBB17_11:
	s_or_b64 exec, exec, s[0:1]
	v_cmp_gt_u32_e32 vcc, 8, v0
	v_lshlrev_b32_e32 v5, 2, v0
	s_waitcnt lgkmcnt(0)
	s_barrier
	s_and_saveexec_b64 s[0:1], vcc
	s_cbranch_execz .LBB17_13
; %bb.12:
	ds_read_b32 v8, v5 offset:16320
	v_and_b32_e32 v9, 7, v4
	v_cmp_ne_u32_e32 vcc, 0, v9
	s_waitcnt lgkmcnt(0)
	v_mov_b32_dpp v10, v8 row_shr:1 row_mask:0xf bank_mask:0xf
	v_cndmask_b32_e32 v10, 0, v10, vcc
	v_add_u32_e32 v8, v10, v8
	v_cmp_lt_u32_e32 vcc, 1, v9
	s_nop 0
	v_mov_b32_dpp v10, v8 row_shr:2 row_mask:0xf bank_mask:0xf
	v_cndmask_b32_e32 v10, 0, v10, vcc
	v_add_u32_e32 v8, v8, v10
	v_cmp_lt_u32_e32 vcc, 3, v9
	s_nop 0
	v_mov_b32_dpp v10, v8 row_shr:4 row_mask:0xf bank_mask:0xf
	v_cndmask_b32_e32 v9, 0, v10, vcc
	v_add_u32_e32 v8, v8, v9
	ds_write_b32 v5, v8 offset:16320
.LBB17_13:
	s_or_b64 exec, exec, s[0:1]
	v_cmp_lt_u32_e32 vcc, 63, v0
	v_mov_b32_e32 v0, 0
	v_mov_b32_e32 v8, 0
	s_waitcnt lgkmcnt(0)
	s_barrier
	s_and_saveexec_b64 s[0:1], vcc
	s_cbranch_execz .LBB17_15
; %bb.14:
	ds_read_b32 v8, v7 offset:16316
.LBB17_15:
	s_or_b64 exec, exec, s[0:1]
	v_add_u32_e32 v7, -1, v4
	v_and_b32_e32 v9, 64, v4
	v_cmp_lt_i32_e32 vcc, v7, v9
	v_cndmask_b32_e32 v7, v7, v4, vcc
	s_waitcnt lgkmcnt(0)
	v_add_u32_e32 v6, v8, v6
	v_lshlrev_b32_e32 v7, 2, v7
	ds_bpermute_b32 v6, v7, v6
	ds_read_b32 v0, v0 offset:16348
	v_cmp_eq_u32_e32 vcc, 0, v4
	s_lshl_b64 s[0:1], s[6:7], 2
	s_add_u32 s0, s2, s0
	s_waitcnt lgkmcnt(1)
	v_cndmask_b32_e32 v4, v6, v8, vcc
	ds_read2_b32 v[6:7], v3 offset1:1
	s_waitcnt lgkmcnt(1)
	v_lshl_add_u32 v0, v0, 16, v4
	ds_read2_b32 v[8:9], v3 offset0:2 offset1:3
	ds_read2_b32 v[10:11], v3 offset0:4 offset1:5
	ds_read_b32 v4, v3 offset:24
	s_addc_u32 s1, s3, s1
	s_waitcnt lgkmcnt(3)
	v_add_u32_e32 v6, v0, v6
	ds_write2_b32 v3, v0, v6 offset1:1
	v_add_u32_e32 v0, v7, v6
	s_waitcnt lgkmcnt(3)
	v_add_u32_e32 v6, v8, v0
	ds_write2_b32 v3, v0, v6 offset0:2 offset1:3
	v_add_u32_e32 v0, v9, v6
	s_waitcnt lgkmcnt(3)
	v_add_u32_e32 v6, v10, v0
	ds_write2_b32 v3, v0, v6 offset0:4 offset1:5
	;; [unrolled: 4-line block ×3, first 2 shown]
	s_waitcnt lgkmcnt(0)
	s_barrier
	ds_read_u16 v0, v1
	s_waitcnt lgkmcnt(0)
	v_add_u32_sdwa v0, v0, v2 dst_sel:DWORD dst_unused:UNUSED_PAD src0_sel:DWORD src1_sel:WORD_0
	global_store_dword v5, v0, s[0:1]
	s_endpgm
	.section	.rodata,"a",@progbits
	.p2align	6, 0x0
	.amdhsa_kernel _Z11rank_kernelILj510ELj1ELj4ELb1EL18RadixRankAlgorithm0ExEvPKT4_Pijj
		.amdhsa_group_segment_fixed_size 16352
		.amdhsa_private_segment_fixed_size 0
		.amdhsa_kernarg_size 24
		.amdhsa_user_sgpr_count 6
		.amdhsa_user_sgpr_private_segment_buffer 1
		.amdhsa_user_sgpr_dispatch_ptr 0
		.amdhsa_user_sgpr_queue_ptr 0
		.amdhsa_user_sgpr_kernarg_segment_ptr 1
		.amdhsa_user_sgpr_dispatch_id 0
		.amdhsa_user_sgpr_flat_scratch_init 0
		.amdhsa_user_sgpr_kernarg_preload_length 0
		.amdhsa_user_sgpr_kernarg_preload_offset 0
		.amdhsa_user_sgpr_private_segment_size 0
		.amdhsa_uses_dynamic_stack 0
		.amdhsa_system_sgpr_private_segment_wavefront_offset 0
		.amdhsa_system_sgpr_workgroup_id_x 1
		.amdhsa_system_sgpr_workgroup_id_y 0
		.amdhsa_system_sgpr_workgroup_id_z 0
		.amdhsa_system_sgpr_workgroup_info 0
		.amdhsa_system_vgpr_workitem_id 0
		.amdhsa_next_free_vgpr 12
		.amdhsa_next_free_sgpr 13
		.amdhsa_accum_offset 12
		.amdhsa_reserve_vcc 1
		.amdhsa_reserve_flat_scratch 0
		.amdhsa_float_round_mode_32 0
		.amdhsa_float_round_mode_16_64 0
		.amdhsa_float_denorm_mode_32 3
		.amdhsa_float_denorm_mode_16_64 3
		.amdhsa_dx10_clamp 1
		.amdhsa_ieee_mode 1
		.amdhsa_fp16_overflow 0
		.amdhsa_tg_split 0
		.amdhsa_exception_fp_ieee_invalid_op 0
		.amdhsa_exception_fp_denorm_src 0
		.amdhsa_exception_fp_ieee_div_zero 0
		.amdhsa_exception_fp_ieee_overflow 0
		.amdhsa_exception_fp_ieee_underflow 0
		.amdhsa_exception_fp_ieee_inexact 0
		.amdhsa_exception_int_div_zero 0
	.end_amdhsa_kernel
	.section	.text._Z11rank_kernelILj510ELj1ELj4ELb1EL18RadixRankAlgorithm0ExEvPKT4_Pijj,"axG",@progbits,_Z11rank_kernelILj510ELj1ELj4ELb1EL18RadixRankAlgorithm0ExEvPKT4_Pijj,comdat
.Lfunc_end17:
	.size	_Z11rank_kernelILj510ELj1ELj4ELb1EL18RadixRankAlgorithm0ExEvPKT4_Pijj, .Lfunc_end17-_Z11rank_kernelILj510ELj1ELj4ELb1EL18RadixRankAlgorithm0ExEvPKT4_Pijj
                                        ; -- End function
	.section	.AMDGPU.csdata,"",@progbits
; Kernel info:
; codeLenInByte = 1040
; NumSgprs: 17
; NumVgprs: 12
; NumAgprs: 0
; TotalNumVgprs: 12
; ScratchSize: 0
; MemoryBound: 0
; FloatMode: 240
; IeeeMode: 1
; LDSByteSize: 16352 bytes/workgroup (compile time only)
; SGPRBlocks: 2
; VGPRBlocks: 1
; NumSGPRsForWavesPerEU: 17
; NumVGPRsForWavesPerEU: 12
; AccumOffset: 12
; Occupancy: 8
; WaveLimiterHint : 0
; COMPUTE_PGM_RSRC2:SCRATCH_EN: 0
; COMPUTE_PGM_RSRC2:USER_SGPR: 6
; COMPUTE_PGM_RSRC2:TRAP_HANDLER: 0
; COMPUTE_PGM_RSRC2:TGID_X_EN: 1
; COMPUTE_PGM_RSRC2:TGID_Y_EN: 0
; COMPUTE_PGM_RSRC2:TGID_Z_EN: 0
; COMPUTE_PGM_RSRC2:TIDIG_COMP_CNT: 0
; COMPUTE_PGM_RSRC3_GFX90A:ACCUM_OFFSET: 2
; COMPUTE_PGM_RSRC3_GFX90A:TG_SPLIT: 0
	.section	.text._Z11rank_kernelILj37ELj1ELj4ELb0EL18RadixRankAlgorithm0EfEvPKT4_Pijj,"axG",@progbits,_Z11rank_kernelILj37ELj1ELj4ELb0EL18RadixRankAlgorithm0EfEvPKT4_Pijj,comdat
	.protected	_Z11rank_kernelILj37ELj1ELj4ELb0EL18RadixRankAlgorithm0EfEvPKT4_Pijj ; -- Begin function _Z11rank_kernelILj37ELj1ELj4ELb0EL18RadixRankAlgorithm0EfEvPKT4_Pijj
	.globl	_Z11rank_kernelILj37ELj1ELj4ELb0EL18RadixRankAlgorithm0EfEvPKT4_Pijj
	.p2align	8
	.type	_Z11rank_kernelILj37ELj1ELj4ELb0EL18RadixRankAlgorithm0EfEvPKT4_Pijj,@function
_Z11rank_kernelILj37ELj1ELj4ELb0EL18RadixRankAlgorithm0EfEvPKT4_Pijj: ; @_Z11rank_kernelILj37ELj1ELj4ELb0EL18RadixRankAlgorithm0EfEvPKT4_Pijj
; %bb.0:
	s_load_dwordx4 s[0:3], s[4:5], 0x0
	s_mul_i32 s8, s6, 37
	s_mov_b32 s9, 0
	s_lshl_b64 s[6:7], s[8:9], 2
	v_lshlrev_b32_e32 v6, 2, v0
	s_waitcnt lgkmcnt(0)
	s_add_u32 s0, s0, s6
	s_addc_u32 s1, s1, s7
	global_load_dword v7, v6, s[0:1]
	s_movk_i32 s0, 0x128
	v_cmp_gt_u32_e32 vcc, s0, v0
	s_and_saveexec_b64 s[10:11], vcc
	s_cbranch_execz .LBB18_7
; %bb.1:
	s_movk_i32 s0, 0x103
	v_bfrev_b32_e32 v2, -4.0
	v_cmp_gt_u32_e32 vcc, s0, v0
	v_subb_co_u32_e64 v2, s[0:1], v2, v0, vcc
	s_mov_b32 s0, 0xbacf914d
	v_sub_u32_e32 v1, 0x103, v0
	v_mul_hi_u32 v2, v2, s0
	v_subb_co_u32_e64 v1, s[0:1], v1, v2, vcc
	v_lshrrev_b32_e32 v1, 1, v1
	v_add_u32_e32 v1, v1, v2
	v_lshrrev_b32_e32 v1, 5, v1
	v_addc_co_u32_e64 v2, s[0:1], 0, v1, vcc
	v_addc_co_u32_e32 v1, vcc, 2, v1, vcc
	v_and_b32_e32 v8, 0xffffffe, v1
	v_add_u32_e32 v1, 37, v0
	v_mov_b32_e32 v3, v2
	s_mov_b64 s[12:13], 0
	v_mov_b32_e32 v9, 0
	v_pk_mov_b32 v[4:5], v[0:1], v[0:1] op_sel:[0,1]
	s_branch .LBB18_3
.LBB18_2:                               ;   in Loop: Header=BB18_3 Depth=1
	s_or_b64 exec, exec, s[0:1]
	s_add_i32 s9, s9, 2
	v_cmp_eq_u32_e32 vcc, s9, v8
	v_add_u32_e32 v5, 0x4a, v5
	s_or_b64 s[12:13], vcc, s[12:13]
	v_add_u32_e32 v4, 0x4a, v4
	s_andn2_b64 exec, exec, s[12:13]
	s_cbranch_execz .LBB18_7
.LBB18_3:                               ; =>This Inner Loop Header: Depth=1
	s_or_b32 s0, s9, 1
	v_cmp_le_u32_e32 vcc, s0, v3
	v_cmp_le_u32_e64 s[0:1], s9, v2
	s_and_saveexec_b64 s[14:15], s[0:1]
	s_cbranch_execz .LBB18_5
; %bb.4:                                ;   in Loop: Header=BB18_3 Depth=1
	v_lshlrev_b32_e32 v1, 2, v4
	ds_write_b32 v1, v9
.LBB18_5:                               ;   in Loop: Header=BB18_3 Depth=1
	s_or_b64 exec, exec, s[14:15]
	s_and_saveexec_b64 s[0:1], vcc
	s_cbranch_execz .LBB18_2
; %bb.6:                                ;   in Loop: Header=BB18_3 Depth=1
	v_lshlrev_b32_e32 v1, 2, v5
	ds_write_b32 v1, v9
	s_branch .LBB18_2
.LBB18_7:
	s_or_b64 exec, exec, s[10:11]
	s_load_dwordx2 s[0:1], s[4:5], 0x10
	v_bfrev_b32_e32 v1, 1
	s_waitcnt vmcnt(0)
	v_cmp_lt_i32_e32 vcc, -1, v7
	v_cndmask_b32_e32 v2, -1, v1, vcc
	v_xor_b32_e32 v2, v2, v7
	s_brev_b32 s4, -2
	s_waitcnt lgkmcnt(0)
	s_and_b32 s1, s1, 31
	s_and_b32 s0, s0, 31
	v_cmp_ne_u32_e32 vcc, s4, v2
	s_add_i32 s0, s0, s1
	v_cndmask_b32_e32 v1, v1, v2, vcc
	s_sub_i32 s0, 32, s0
	v_lshlrev_b32_e32 v1, s0, v1
	s_sub_i32 s0, 32, s1
	s_cmp_lg_u32 s1, 0
	v_lshrrev_b32_e32 v1, s0, v1
	s_cselect_b64 vcc, -1, 0
	v_cndmask_b32_e32 v1, 0, v1, vcc
	v_and_b32_e32 v2, 7, v1
	v_mul_u32_u24_e32 v2, 37, v2
	v_lshrrev_b32_e32 v1, 3, v1
	v_add_lshl_u32 v2, v2, v0, 1
	v_add_lshl_u32 v1, v2, v1, 1
	ds_read_u16 v2, v1
	s_waitcnt lgkmcnt(0)
	v_add_u16_e32 v3, 1, v2
	ds_write_b16 v1, v3
	v_lshlrev_b32_e32 v3, 5, v0
	s_waitcnt lgkmcnt(0)
	; wave barrier
	s_waitcnt lgkmcnt(0)
	ds_read2_b32 v[4:5], v3 offset1:1
	ds_read2_b32 v[8:9], v3 offset0:2 offset1:3
	ds_read2_b32 v[10:11], v3 offset0:4 offset1:5
	;; [unrolled: 1-line block ×3, first 2 shown]
	s_waitcnt lgkmcnt(3)
	v_add_u32_e32 v4, v5, v4
	s_waitcnt lgkmcnt(2)
	v_add3_u32 v4, v4, v8, v9
	s_waitcnt lgkmcnt(1)
	v_add3_u32 v4, v4, v10, v11
	;; [unrolled: 2-line block ×3, first 2 shown]
	v_mbcnt_lo_u32_b32 v4, -1, 0
	v_mbcnt_hi_u32_b32 v4, -1, v4
	v_and_b32_e32 v7, 15, v4
	v_mov_b32_dpp v8, v5 row_shr:1 row_mask:0xf bank_mask:0xf
	v_cmp_ne_u32_e32 vcc, 0, v7
	v_cndmask_b32_e32 v8, 0, v8, vcc
	v_add_u32_e32 v5, v8, v5
	v_cmp_lt_u32_e32 vcc, 1, v7
	s_nop 0
	v_mov_b32_dpp v8, v5 row_shr:2 row_mask:0xf bank_mask:0xf
	v_cndmask_b32_e32 v8, 0, v8, vcc
	v_add_u32_e32 v5, v5, v8
	v_cmp_lt_u32_e32 vcc, 3, v7
	s_nop 0
	v_mov_b32_dpp v8, v5 row_shr:4 row_mask:0xf bank_mask:0xf
	;; [unrolled: 5-line block ×3, first 2 shown]
	v_cndmask_b32_e32 v7, 0, v8, vcc
	v_add_u32_e32 v5, v5, v7
	v_bfe_i32 v8, v4, 4, 1
	v_cmp_lt_u32_e32 vcc, 31, v4
	v_mov_b32_dpp v7, v5 row_bcast:15 row_mask:0xf bank_mask:0xf
	v_and_b32_e32 v7, v8, v7
	v_add_u32_e32 v5, v5, v7
	s_nop 1
	v_mov_b32_dpp v7, v5 row_bcast:31 row_mask:0xf bank_mask:0xf
	v_cndmask_b32_e32 v7, 0, v7, vcc
	v_add_u32_e32 v5, v5, v7
	v_cmp_eq_u32_e32 vcc, 36, v0
	s_and_saveexec_b64 s[0:1], vcc
	s_cbranch_execz .LBB18_9
; %bb.8:
	v_mov_b32_e32 v0, 0
	ds_write_b32 v0, v5 offset:1184
.LBB18_9:
	s_or_b64 exec, exec, s[0:1]
	v_add_u32_e32 v0, -1, v4
	v_and_b32_e32 v7, 64, v4
	v_cmp_lt_i32_e32 vcc, v0, v7
	v_cndmask_b32_e32 v0, v0, v4, vcc
	v_lshlrev_b32_e32 v0, 2, v0
	ds_bpermute_b32 v0, v0, v5
	v_mov_b32_e32 v5, 0
	s_waitcnt lgkmcnt(0)
	; wave barrier
	s_waitcnt lgkmcnt(0)
	ds_read_b32 v7, v5 offset:1184
	v_cmp_ne_u32_e32 vcc, 0, v4
	ds_read2_b32 v[4:5], v3 offset1:1
	v_cndmask_b32_e32 v0, 0, v0, vcc
	s_add_u32 s0, s2, s6
	s_waitcnt lgkmcnt(1)
	v_lshl_add_u32 v0, v7, 16, v0
	ds_read2_b32 v[8:9], v3 offset0:2 offset1:3
	ds_read2_b32 v[10:11], v3 offset0:4 offset1:5
	ds_read_b32 v7, v3 offset:24
	s_waitcnt lgkmcnt(3)
	v_add_u32_e32 v4, v0, v4
	ds_write2_b32 v3, v0, v4 offset1:1
	v_add_u32_e32 v0, v5, v4
	s_waitcnt lgkmcnt(3)
	v_add_u32_e32 v4, v8, v0
	ds_write2_b32 v3, v0, v4 offset0:2 offset1:3
	v_add_u32_e32 v0, v9, v4
	s_waitcnt lgkmcnt(3)
	v_add_u32_e32 v4, v10, v0
	ds_write2_b32 v3, v0, v4 offset0:4 offset1:5
	;; [unrolled: 4-line block ×3, first 2 shown]
	s_waitcnt lgkmcnt(0)
	; wave barrier
	s_waitcnt lgkmcnt(0)
	ds_read_u16 v0, v1
	s_addc_u32 s1, s3, s7
	s_waitcnt lgkmcnt(0)
	v_add_u32_sdwa v0, v0, v2 dst_sel:DWORD dst_unused:UNUSED_PAD src0_sel:DWORD src1_sel:WORD_0
	global_store_dword v6, v0, s[0:1]
	s_endpgm
	.section	.rodata,"a",@progbits
	.p2align	6, 0x0
	.amdhsa_kernel _Z11rank_kernelILj37ELj1ELj4ELb0EL18RadixRankAlgorithm0EfEvPKT4_Pijj
		.amdhsa_group_segment_fixed_size 1200
		.amdhsa_private_segment_fixed_size 0
		.amdhsa_kernarg_size 24
		.amdhsa_user_sgpr_count 6
		.amdhsa_user_sgpr_private_segment_buffer 1
		.amdhsa_user_sgpr_dispatch_ptr 0
		.amdhsa_user_sgpr_queue_ptr 0
		.amdhsa_user_sgpr_kernarg_segment_ptr 1
		.amdhsa_user_sgpr_dispatch_id 0
		.amdhsa_user_sgpr_flat_scratch_init 0
		.amdhsa_user_sgpr_kernarg_preload_length 0
		.amdhsa_user_sgpr_kernarg_preload_offset 0
		.amdhsa_user_sgpr_private_segment_size 0
		.amdhsa_uses_dynamic_stack 0
		.amdhsa_system_sgpr_private_segment_wavefront_offset 0
		.amdhsa_system_sgpr_workgroup_id_x 1
		.amdhsa_system_sgpr_workgroup_id_y 0
		.amdhsa_system_sgpr_workgroup_id_z 0
		.amdhsa_system_sgpr_workgroup_info 0
		.amdhsa_system_vgpr_workitem_id 0
		.amdhsa_next_free_vgpr 14
		.amdhsa_next_free_sgpr 16
		.amdhsa_accum_offset 16
		.amdhsa_reserve_vcc 1
		.amdhsa_reserve_flat_scratch 0
		.amdhsa_float_round_mode_32 0
		.amdhsa_float_round_mode_16_64 0
		.amdhsa_float_denorm_mode_32 3
		.amdhsa_float_denorm_mode_16_64 3
		.amdhsa_dx10_clamp 1
		.amdhsa_ieee_mode 1
		.amdhsa_fp16_overflow 0
		.amdhsa_tg_split 0
		.amdhsa_exception_fp_ieee_invalid_op 0
		.amdhsa_exception_fp_denorm_src 0
		.amdhsa_exception_fp_ieee_div_zero 0
		.amdhsa_exception_fp_ieee_overflow 0
		.amdhsa_exception_fp_ieee_underflow 0
		.amdhsa_exception_fp_ieee_inexact 0
		.amdhsa_exception_int_div_zero 0
	.end_amdhsa_kernel
	.section	.text._Z11rank_kernelILj37ELj1ELj4ELb0EL18RadixRankAlgorithm0EfEvPKT4_Pijj,"axG",@progbits,_Z11rank_kernelILj37ELj1ELj4ELb0EL18RadixRankAlgorithm0EfEvPKT4_Pijj,comdat
.Lfunc_end18:
	.size	_Z11rank_kernelILj37ELj1ELj4ELb0EL18RadixRankAlgorithm0EfEvPKT4_Pijj, .Lfunc_end18-_Z11rank_kernelILj37ELj1ELj4ELb0EL18RadixRankAlgorithm0EfEvPKT4_Pijj
                                        ; -- End function
	.section	.AMDGPU.csdata,"",@progbits
; Kernel info:
; codeLenInByte = 916
; NumSgprs: 20
; NumVgprs: 14
; NumAgprs: 0
; TotalNumVgprs: 14
; ScratchSize: 0
; MemoryBound: 0
; FloatMode: 240
; IeeeMode: 1
; LDSByteSize: 1200 bytes/workgroup (compile time only)
; SGPRBlocks: 2
; VGPRBlocks: 1
; NumSGPRsForWavesPerEU: 20
; NumVGPRsForWavesPerEU: 14
; AccumOffset: 16
; Occupancy: 8
; WaveLimiterHint : 0
; COMPUTE_PGM_RSRC2:SCRATCH_EN: 0
; COMPUTE_PGM_RSRC2:USER_SGPR: 6
; COMPUTE_PGM_RSRC2:TRAP_HANDLER: 0
; COMPUTE_PGM_RSRC2:TGID_X_EN: 1
; COMPUTE_PGM_RSRC2:TGID_Y_EN: 0
; COMPUTE_PGM_RSRC2:TGID_Z_EN: 0
; COMPUTE_PGM_RSRC2:TIDIG_COMP_CNT: 0
; COMPUTE_PGM_RSRC3_GFX90A:ACCUM_OFFSET: 3
; COMPUTE_PGM_RSRC3_GFX90A:TG_SPLIT: 0
	.section	.text._Z11rank_kernelILj65ELj1ELj4ELb0EL18RadixRankAlgorithm0EdEvPKT4_Pijj,"axG",@progbits,_Z11rank_kernelILj65ELj1ELj4ELb0EL18RadixRankAlgorithm0EdEvPKT4_Pijj,comdat
	.protected	_Z11rank_kernelILj65ELj1ELj4ELb0EL18RadixRankAlgorithm0EdEvPKT4_Pijj ; -- Begin function _Z11rank_kernelILj65ELj1ELj4ELb0EL18RadixRankAlgorithm0EdEvPKT4_Pijj
	.globl	_Z11rank_kernelILj65ELj1ELj4ELb0EL18RadixRankAlgorithm0EdEvPKT4_Pijj
	.p2align	8
	.type	_Z11rank_kernelILj65ELj1ELj4ELb0EL18RadixRankAlgorithm0EdEvPKT4_Pijj,@function
_Z11rank_kernelILj65ELj1ELj4ELb0EL18RadixRankAlgorithm0EdEvPKT4_Pijj: ; @_Z11rank_kernelILj65ELj1ELj4ELb0EL18RadixRankAlgorithm0EdEvPKT4_Pijj
; %bb.0:
	s_load_dwordx4 s[0:3], s[4:5], 0x0
	s_mulk_i32 s6, 0x41
	s_mov_b32 s7, 0
	s_lshl_b64 s[8:9], s[6:7], 3
	v_lshlrev_b32_e32 v1, 3, v0
	s_waitcnt lgkmcnt(0)
	s_add_u32 s0, s0, s8
	s_addc_u32 s1, s1, s9
	global_load_dwordx2 v[2:3], v1, s[0:1]
	s_movk_i32 s0, 0x208
	v_cmp_gt_u32_e32 vcc, s0, v0
	s_and_saveexec_b64 s[8:9], vcc
	s_cbranch_execz .LBB19_7
; %bb.1:
	s_movk_i32 s0, 0x1c7
	v_mov_b32_e32 v1, 0x1c7
	v_cmp_gt_u32_e32 vcc, s0, v0
	v_subb_co_u32_e64 v1, s[0:1], v1, v0, vcc
	s_mov_b32 s0, 0x3f03f04
	v_mul_hi_u32 v1, v1, s0
	v_addc_co_u32_e64 v4, s[0:1], 0, v1, vcc
	v_addc_co_u32_e32 v1, vcc, 2, v1, vcc
	v_and_b32_e32 v8, 14, v1
	v_add_u32_e32 v1, 0x41, v0
	v_mov_b32_e32 v5, v4
	s_mov_b64 s[10:11], 0
	v_mov_b32_e32 v9, 0
	s_mov_b32 s14, s7
	v_pk_mov_b32 v[6:7], v[0:1], v[0:1] op_sel:[0,1]
	s_branch .LBB19_3
.LBB19_2:                               ;   in Loop: Header=BB19_3 Depth=1
	s_or_b64 exec, exec, s[0:1]
	s_add_i32 s14, s14, 2
	v_cmp_eq_u32_e32 vcc, s14, v8
	v_add_u32_e32 v7, 0x82, v7
	s_or_b64 s[10:11], vcc, s[10:11]
	v_add_u32_e32 v6, 0x82, v6
	s_andn2_b64 exec, exec, s[10:11]
	s_cbranch_execz .LBB19_7
.LBB19_3:                               ; =>This Inner Loop Header: Depth=1
	s_or_b32 s0, s14, 1
	v_cmp_le_u32_e32 vcc, s0, v5
	v_cmp_le_u32_e64 s[0:1], s14, v4
	s_and_saveexec_b64 s[12:13], s[0:1]
	s_cbranch_execz .LBB19_5
; %bb.4:                                ;   in Loop: Header=BB19_3 Depth=1
	v_lshlrev_b32_e32 v1, 2, v6
	ds_write_b32 v1, v9
.LBB19_5:                               ;   in Loop: Header=BB19_3 Depth=1
	s_or_b64 exec, exec, s[12:13]
	s_and_saveexec_b64 s[0:1], vcc
	s_cbranch_execz .LBB19_2
; %bb.6:                                ;   in Loop: Header=BB19_3 Depth=1
	v_lshlrev_b32_e32 v1, 2, v7
	ds_write_b32 v1, v9
	s_branch .LBB19_2
.LBB19_7:
	s_or_b64 exec, exec, s[8:9]
	s_load_dwordx2 s[0:1], s[4:5], 0x10
	v_mov_b32_e32 v4, 0
	s_waitcnt lgkmcnt(0)
	s_and_b32 s1, s1, 63
	s_cmp_eq_u32 s1, 0
	s_cbranch_scc1 .LBB19_9
; %bb.8:
	v_bfrev_b32_e32 v1, 1
	s_waitcnt vmcnt(0)
	v_cmp_lt_i64_e32 vcc, -1, v[2:3]
	s_mov_b32 s4, -1
	v_cndmask_b32_e32 v4, -1, v1, vcc
	v_ashrrev_i32_e32 v5, 31, v3
	s_brev_b32 s5, -2
	v_xor_b32_e32 v3, v4, v3
	v_xor_b32_e32 v2, v5, v2
	s_and_b32 s0, s0, 63
	v_cmp_ne_u64_e32 vcc, s[4:5], v[2:3]
	s_add_i32 s0, s0, s1
	v_cndmask_b32_e32 v3, v1, v3, vcc
	v_cndmask_b32_e32 v2, 0, v2, vcc
	s_sub_i32 s0, 64, s0
	v_lshlrev_b64 v[2:3], s0, v[2:3]
	s_sub_i32 s0, 64, s1
	v_lshrrev_b64 v[4:5], s0, v[2:3]
.LBB19_9:
	v_and_b32_e32 v1, 7, v4
	v_mul_u32_u24_e32 v1, 0x41, v1
	s_waitcnt vmcnt(0)
	v_lshrrev_b32_e32 v2, 3, v4
	v_add_lshl_u32 v1, v1, v0, 1
	v_add_lshl_u32 v1, v1, v2, 1
	ds_read_u16 v2, v1
	v_cmp_gt_u32_e64 s[0:1], 64, v0
	s_waitcnt lgkmcnt(0)
	v_add_u16_e32 v3, 1, v2
	ds_write_b16 v1, v3
	v_lshlrev_b32_e32 v3, 5, v0
	s_waitcnt lgkmcnt(0)
	s_barrier
	ds_read2_b32 v[4:5], v3 offset1:1
	ds_read2_b32 v[6:7], v3 offset0:2 offset1:3
	ds_read2_b32 v[8:9], v3 offset0:4 offset1:5
	;; [unrolled: 1-line block ×3, first 2 shown]
	s_waitcnt lgkmcnt(3)
	v_add_u32_e32 v4, v5, v4
	s_waitcnt lgkmcnt(2)
	v_add3_u32 v4, v4, v6, v7
	s_waitcnt lgkmcnt(1)
	v_add3_u32 v4, v4, v8, v9
	;; [unrolled: 2-line block ×3, first 2 shown]
	v_mbcnt_lo_u32_b32 v4, -1, 0
	v_mbcnt_hi_u32_b32 v4, -1, v4
	v_and_b32_e32 v6, 15, v4
	v_mov_b32_dpp v7, v5 row_shr:1 row_mask:0xf bank_mask:0xf
	v_cmp_ne_u32_e32 vcc, 0, v6
	v_cndmask_b32_e32 v7, 0, v7, vcc
	v_add_u32_e32 v5, v7, v5
	v_cmp_lt_u32_e32 vcc, 1, v6
	s_nop 0
	v_mov_b32_dpp v7, v5 row_shr:2 row_mask:0xf bank_mask:0xf
	v_cndmask_b32_e32 v7, 0, v7, vcc
	v_add_u32_e32 v5, v5, v7
	v_cmp_lt_u32_e32 vcc, 3, v6
	s_nop 0
	v_mov_b32_dpp v7, v5 row_shr:4 row_mask:0xf bank_mask:0xf
	;; [unrolled: 5-line block ×3, first 2 shown]
	v_cndmask_b32_e32 v6, 0, v7, vcc
	v_add_u32_e32 v5, v5, v6
	v_bfe_i32 v7, v4, 4, 1
	v_cmp_lt_u32_e32 vcc, 31, v4
	v_mov_b32_dpp v6, v5 row_bcast:15 row_mask:0xf bank_mask:0xf
	v_and_b32_e32 v6, v7, v6
	v_add_u32_e32 v5, v5, v6
	v_cndmask_b32_e64 v7, 64, 63, s[0:1]
	v_cmp_eq_u32_e64 s[0:1], v7, v0
	v_mov_b32_dpp v6, v5 row_bcast:31 row_mask:0xf bank_mask:0xf
	v_cndmask_b32_e32 v6, 0, v6, vcc
	v_add_u32_e32 v5, v5, v6
	v_lshrrev_b32_e32 v6, 6, v0
	v_cmp_lt_u32_e32 vcc, 63, v0
	v_lshlrev_b32_e32 v6, 2, v6
	s_and_saveexec_b64 s[4:5], s[0:1]
	s_cbranch_execz .LBB19_11
; %bb.10:
	ds_write_b32 v6, v5 offset:2080
.LBB19_11:
	s_or_b64 exec, exec, s[4:5]
	v_cmp_gt_u32_e64 s[0:1], 2, v0
	v_lshlrev_b32_e32 v0, 2, v0
	s_waitcnt lgkmcnt(0)
	s_barrier
	s_and_saveexec_b64 s[4:5], s[0:1]
	s_cbranch_execz .LBB19_13
; %bb.12:
	ds_read_b32 v7, v0 offset:2080
	v_bfe_i32 v8, v4, 0, 1
	s_waitcnt lgkmcnt(0)
	v_mov_b32_dpp v9, v7 row_shr:1 row_mask:0xf bank_mask:0xf
	v_and_b32_e32 v8, v8, v9
	v_add_u32_e32 v7, v8, v7
	ds_write_b32 v0, v7 offset:2080
.LBB19_13:
	s_or_b64 exec, exec, s[4:5]
	v_mov_b32_e32 v7, 0
	v_mov_b32_e32 v8, 0
	s_waitcnt lgkmcnt(0)
	s_barrier
	s_and_saveexec_b64 s[0:1], vcc
	s_cbranch_execz .LBB19_15
; %bb.14:
	ds_read_b32 v8, v6 offset:2076
.LBB19_15:
	s_or_b64 exec, exec, s[0:1]
	v_add_u32_e32 v6, -1, v4
	v_and_b32_e32 v9, 64, v4
	v_cmp_lt_i32_e32 vcc, v6, v9
	v_cndmask_b32_e32 v6, v6, v4, vcc
	s_waitcnt lgkmcnt(0)
	v_add_u32_e32 v5, v8, v5
	v_lshlrev_b32_e32 v6, 2, v6
	ds_bpermute_b32 v5, v6, v5
	ds_read_b32 v6, v7 offset:2084
	v_cmp_eq_u32_e32 vcc, 0, v4
	s_lshl_b64 s[0:1], s[6:7], 2
	s_add_u32 s0, s2, s0
	s_waitcnt lgkmcnt(1)
	v_cndmask_b32_e32 v7, v5, v8, vcc
	ds_read2_b32 v[4:5], v3 offset1:1
	s_waitcnt lgkmcnt(1)
	v_lshl_add_u32 v10, v6, 16, v7
	ds_read2_b32 v[6:7], v3 offset0:2 offset1:3
	ds_read2_b32 v[8:9], v3 offset0:4 offset1:5
	ds_read_b32 v11, v3 offset:24
	s_addc_u32 s1, s3, s1
	s_waitcnt lgkmcnt(3)
	v_add_u32_e32 v4, v10, v4
	ds_write2_b32 v3, v10, v4 offset1:1
	v_add_u32_e32 v4, v5, v4
	s_waitcnt lgkmcnt(3)
	v_add_u32_e32 v5, v6, v4
	ds_write2_b32 v3, v4, v5 offset0:2 offset1:3
	v_add_u32_e32 v4, v7, v5
	s_waitcnt lgkmcnt(3)
	v_add_u32_e32 v5, v8, v4
	ds_write2_b32 v3, v4, v5 offset0:4 offset1:5
	;; [unrolled: 4-line block ×3, first 2 shown]
	s_waitcnt lgkmcnt(0)
	s_barrier
	ds_read_u16 v1, v1
	s_waitcnt lgkmcnt(0)
	v_add_u32_sdwa v1, v1, v2 dst_sel:DWORD dst_unused:UNUSED_PAD src0_sel:DWORD src1_sel:WORD_0
	global_store_dword v0, v1, s[0:1]
	s_endpgm
	.section	.rodata,"a",@progbits
	.p2align	6, 0x0
	.amdhsa_kernel _Z11rank_kernelILj65ELj1ELj4ELb0EL18RadixRankAlgorithm0EdEvPKT4_Pijj
		.amdhsa_group_segment_fixed_size 2096
		.amdhsa_private_segment_fixed_size 0
		.amdhsa_kernarg_size 24
		.amdhsa_user_sgpr_count 6
		.amdhsa_user_sgpr_private_segment_buffer 1
		.amdhsa_user_sgpr_dispatch_ptr 0
		.amdhsa_user_sgpr_queue_ptr 0
		.amdhsa_user_sgpr_kernarg_segment_ptr 1
		.amdhsa_user_sgpr_dispatch_id 0
		.amdhsa_user_sgpr_flat_scratch_init 0
		.amdhsa_user_sgpr_kernarg_preload_length 0
		.amdhsa_user_sgpr_kernarg_preload_offset 0
		.amdhsa_user_sgpr_private_segment_size 0
		.amdhsa_uses_dynamic_stack 0
		.amdhsa_system_sgpr_private_segment_wavefront_offset 0
		.amdhsa_system_sgpr_workgroup_id_x 1
		.amdhsa_system_sgpr_workgroup_id_y 0
		.amdhsa_system_sgpr_workgroup_id_z 0
		.amdhsa_system_sgpr_workgroup_info 0
		.amdhsa_system_vgpr_workitem_id 0
		.amdhsa_next_free_vgpr 12
		.amdhsa_next_free_sgpr 15
		.amdhsa_accum_offset 12
		.amdhsa_reserve_vcc 1
		.amdhsa_reserve_flat_scratch 0
		.amdhsa_float_round_mode_32 0
		.amdhsa_float_round_mode_16_64 0
		.amdhsa_float_denorm_mode_32 3
		.amdhsa_float_denorm_mode_16_64 3
		.amdhsa_dx10_clamp 1
		.amdhsa_ieee_mode 1
		.amdhsa_fp16_overflow 0
		.amdhsa_tg_split 0
		.amdhsa_exception_fp_ieee_invalid_op 0
		.amdhsa_exception_fp_denorm_src 0
		.amdhsa_exception_fp_ieee_div_zero 0
		.amdhsa_exception_fp_ieee_overflow 0
		.amdhsa_exception_fp_ieee_underflow 0
		.amdhsa_exception_fp_ieee_inexact 0
		.amdhsa_exception_int_div_zero 0
	.end_amdhsa_kernel
	.section	.text._Z11rank_kernelILj65ELj1ELj4ELb0EL18RadixRankAlgorithm0EdEvPKT4_Pijj,"axG",@progbits,_Z11rank_kernelILj65ELj1ELj4ELb0EL18RadixRankAlgorithm0EdEvPKT4_Pijj,comdat
.Lfunc_end19:
	.size	_Z11rank_kernelILj65ELj1ELj4ELb0EL18RadixRankAlgorithm0EdEvPKT4_Pijj, .Lfunc_end19-_Z11rank_kernelILj65ELj1ELj4ELb0EL18RadixRankAlgorithm0EdEvPKT4_Pijj
                                        ; -- End function
	.section	.AMDGPU.csdata,"",@progbits
; Kernel info:
; codeLenInByte = 1068
; NumSgprs: 19
; NumVgprs: 12
; NumAgprs: 0
; TotalNumVgprs: 12
; ScratchSize: 0
; MemoryBound: 0
; FloatMode: 240
; IeeeMode: 1
; LDSByteSize: 2096 bytes/workgroup (compile time only)
; SGPRBlocks: 2
; VGPRBlocks: 1
; NumSGPRsForWavesPerEU: 19
; NumVGPRsForWavesPerEU: 12
; AccumOffset: 12
; Occupancy: 8
; WaveLimiterHint : 0
; COMPUTE_PGM_RSRC2:SCRATCH_EN: 0
; COMPUTE_PGM_RSRC2:USER_SGPR: 6
; COMPUTE_PGM_RSRC2:TRAP_HANDLER: 0
; COMPUTE_PGM_RSRC2:TGID_X_EN: 1
; COMPUTE_PGM_RSRC2:TGID_Y_EN: 0
; COMPUTE_PGM_RSRC2:TGID_Z_EN: 0
; COMPUTE_PGM_RSRC2:TIDIG_COMP_CNT: 0
; COMPUTE_PGM_RSRC3_GFX90A:ACCUM_OFFSET: 2
; COMPUTE_PGM_RSRC3_GFX90A:TG_SPLIT: 0
	.section	.text._Z11rank_kernelILj512ELj1ELj4ELb1EL18RadixRankAlgorithm0EtEvPKT4_Pijj,"axG",@progbits,_Z11rank_kernelILj512ELj1ELj4ELb1EL18RadixRankAlgorithm0EtEvPKT4_Pijj,comdat
	.protected	_Z11rank_kernelILj512ELj1ELj4ELb1EL18RadixRankAlgorithm0EtEvPKT4_Pijj ; -- Begin function _Z11rank_kernelILj512ELj1ELj4ELb1EL18RadixRankAlgorithm0EtEvPKT4_Pijj
	.globl	_Z11rank_kernelILj512ELj1ELj4ELb1EL18RadixRankAlgorithm0EtEvPKT4_Pijj
	.p2align	8
	.type	_Z11rank_kernelILj512ELj1ELj4ELb1EL18RadixRankAlgorithm0EtEvPKT4_Pijj,@function
_Z11rank_kernelILj512ELj1ELj4ELb1EL18RadixRankAlgorithm0EtEvPKT4_Pijj: ; @_Z11rank_kernelILj512ELj1ELj4ELb1EL18RadixRankAlgorithm0EtEvPKT4_Pijj
; %bb.0:
	s_load_dwordx4 s[0:3], s[4:5], 0x0
	s_lshl_b32 s6, s6, 9
	s_mov_b32 s7, 0
	s_lshl_b64 s[8:9], s[6:7], 1
	v_lshlrev_b32_e32 v1, 1, v0
	s_waitcnt lgkmcnt(0)
	s_add_u32 s0, s0, s8
	s_addc_u32 s1, s1, s9
	global_load_ushort v2, v1, s[0:1]
	v_lshlrev_b32_e32 v1, 2, v0
	v_mov_b32_e32 v4, 0
	v_or_b32_e32 v3, 0xa00, v0
	v_or_b32_e32 v5, 0x800, v0
	s_mov_b64 s[0:1], -1
	ds_write2st64_b32 v1, v4, v4 offset1:8
	ds_write2st64_b32 v1, v4, v4 offset0:16 offset1:24
	s_and_saveexec_b64 s[8:9], s[0:1]
	s_cbranch_execz .LBB20_2
; %bb.1:
	v_lshlrev_b32_e32 v5, 2, v5
	ds_write_b32 v5, v4
.LBB20_2:
	s_or_b64 exec, exec, s[8:9]
	s_and_saveexec_b64 s[8:9], s[0:1]
	s_cbranch_execz .LBB20_4
; %bb.3:
	v_lshlrev_b32_e32 v3, 2, v3
	v_mov_b32_e32 v4, 0
	ds_write_b32 v3, v4
.LBB20_4:
	s_or_b64 exec, exec, s[8:9]
	v_or_b32_e32 v3, 0xe00, v0
	v_or_b32_e32 v4, 0xc00, v0
	v_cmp_gt_u32_e64 s[0:1], 7, 6
	v_cmp_gt_u32_e64 s[10:11], 7, 5
	s_and_saveexec_b64 s[8:9], s[10:11]
	s_cbranch_execz .LBB20_6
; %bb.5:
	v_lshlrev_b32_e32 v4, 2, v4
	v_mov_b32_e32 v5, 0
	ds_write_b32 v4, v5
.LBB20_6:
	s_or_b64 exec, exec, s[8:9]
	s_and_saveexec_b64 s[8:9], s[0:1]
	s_cbranch_execz .LBB20_8
; %bb.7:
	v_lshlrev_b32_e32 v3, 2, v3
	v_mov_b32_e32 v4, 0
	ds_write_b32 v3, v4
.LBB20_8:
	s_or_b64 exec, exec, s[8:9]
	s_load_dwordx2 s[0:1], s[4:5], 0x10
	s_waitcnt lgkmcnt(0)
	s_and_b32 s1, s1, 31
	s_and_b32 s0, s0, 31
	s_add_i32 s0, s0, s1
	s_sub_i32 s0, 32, s0
	s_sub_i32 s4, 32, s1
	s_waitcnt vmcnt(0)
	v_lshlrev_b32_sdwa v2, s0, v2 dst_sel:DWORD dst_unused:UNUSED_PAD src0_sel:DWORD src1_sel:WORD_0
	s_cmp_lg_u32 s1, 0
	v_bfe_u32 v2, v2, s4, 16
	v_xor_b32_e32 v2, 15, v2
	s_cselect_b64 vcc, -1, 0
	v_cndmask_b32_e32 v2, 15, v2, vcc
	v_lshrrev_b32_e32 v3, 3, v2
	v_lshlrev_b32_e32 v2, 9, v2
	s_movk_i32 s0, 0xe00
	v_and_or_b32 v2, v2, s0, v0
	v_lshlrev_b32_e32 v2, 1, v2
	v_add_lshl_u32 v2, v2, v3, 1
	ds_read_u16 v3, v2
	s_waitcnt lgkmcnt(0)
	v_add_u16_e32 v4, 1, v3
	ds_write_b16 v2, v4
	v_lshlrev_b32_e32 v4, 5, v0
	s_waitcnt lgkmcnt(0)
	s_barrier
	ds_read2_b32 v[6:7], v4 offset1:1
	ds_read2_b32 v[8:9], v4 offset0:2 offset1:3
	ds_read2_b32 v[10:11], v4 offset0:4 offset1:5
	;; [unrolled: 1-line block ×3, first 2 shown]
	s_waitcnt lgkmcnt(3)
	v_add_u32_e32 v5, v7, v6
	s_waitcnt lgkmcnt(2)
	v_add3_u32 v5, v5, v8, v9
	s_waitcnt lgkmcnt(1)
	v_add3_u32 v5, v5, v10, v11
	;; [unrolled: 2-line block ×3, first 2 shown]
	v_mbcnt_lo_u32_b32 v5, -1, 0
	v_mbcnt_hi_u32_b32 v5, -1, v5
	v_and_b32_e32 v7, 15, v5
	v_mov_b32_dpp v8, v6 row_shr:1 row_mask:0xf bank_mask:0xf
	v_cmp_ne_u32_e32 vcc, 0, v7
	v_cndmask_b32_e32 v8, 0, v8, vcc
	v_add_u32_e32 v6, v8, v6
	v_cmp_lt_u32_e32 vcc, 1, v7
	s_nop 0
	v_mov_b32_dpp v8, v6 row_shr:2 row_mask:0xf bank_mask:0xf
	v_cndmask_b32_e32 v8, 0, v8, vcc
	v_add_u32_e32 v6, v6, v8
	v_cmp_lt_u32_e32 vcc, 3, v7
	s_nop 0
	v_mov_b32_dpp v8, v6 row_shr:4 row_mask:0xf bank_mask:0xf
	;; [unrolled: 5-line block ×3, first 2 shown]
	v_cndmask_b32_e32 v7, 0, v8, vcc
	v_add_u32_e32 v6, v6, v7
	v_bfe_i32 v8, v5, 4, 1
	v_cmp_lt_u32_e32 vcc, 31, v5
	v_mov_b32_dpp v7, v6 row_bcast:15 row_mask:0xf bank_mask:0xf
	v_and_b32_e32 v7, v8, v7
	v_add_u32_e32 v6, v6, v7
	v_or_b32_e32 v8, 63, v0
	s_nop 0
	v_mov_b32_dpp v7, v6 row_bcast:31 row_mask:0xf bank_mask:0xf
	v_cndmask_b32_e32 v7, 0, v7, vcc
	v_add_u32_e32 v6, v6, v7
	v_lshrrev_b32_e32 v7, 6, v0
	v_cmp_eq_u32_e32 vcc, v8, v0
	v_lshlrev_b32_e32 v7, 2, v7
	s_and_saveexec_b64 s[0:1], vcc
	s_cbranch_execz .LBB20_10
; %bb.9:
	ds_write_b32 v7, v6 offset:16384
.LBB20_10:
	s_or_b64 exec, exec, s[0:1]
	v_cmp_gt_u32_e32 vcc, 8, v0
	s_waitcnt lgkmcnt(0)
	s_barrier
	s_and_saveexec_b64 s[0:1], vcc
	s_cbranch_execz .LBB20_12
; %bb.11:
	ds_read_b32 v8, v1 offset:16384
	v_and_b32_e32 v9, 7, v5
	v_cmp_ne_u32_e32 vcc, 0, v9
	s_waitcnt lgkmcnt(0)
	v_mov_b32_dpp v10, v8 row_shr:1 row_mask:0xf bank_mask:0xf
	v_cndmask_b32_e32 v10, 0, v10, vcc
	v_add_u32_e32 v8, v10, v8
	v_cmp_lt_u32_e32 vcc, 1, v9
	s_nop 0
	v_mov_b32_dpp v10, v8 row_shr:2 row_mask:0xf bank_mask:0xf
	v_cndmask_b32_e32 v10, 0, v10, vcc
	v_add_u32_e32 v8, v8, v10
	v_cmp_lt_u32_e32 vcc, 3, v9
	s_nop 0
	v_mov_b32_dpp v10, v8 row_shr:4 row_mask:0xf bank_mask:0xf
	v_cndmask_b32_e32 v9, 0, v10, vcc
	v_add_u32_e32 v8, v8, v9
	ds_write_b32 v1, v8 offset:16384
.LBB20_12:
	s_or_b64 exec, exec, s[0:1]
	v_cmp_lt_u32_e32 vcc, 63, v0
	v_mov_b32_e32 v0, 0
	v_mov_b32_e32 v8, 0
	s_waitcnt lgkmcnt(0)
	s_barrier
	s_and_saveexec_b64 s[0:1], vcc
	s_cbranch_execz .LBB20_14
; %bb.13:
	ds_read_b32 v8, v7 offset:16380
.LBB20_14:
	s_or_b64 exec, exec, s[0:1]
	v_add_u32_e32 v7, -1, v5
	v_and_b32_e32 v9, 64, v5
	v_cmp_lt_i32_e32 vcc, v7, v9
	v_cndmask_b32_e32 v7, v7, v5, vcc
	s_waitcnt lgkmcnt(0)
	v_add_u32_e32 v6, v8, v6
	v_lshlrev_b32_e32 v7, 2, v7
	ds_bpermute_b32 v6, v7, v6
	ds_read_b32 v0, v0 offset:16412
	v_cmp_eq_u32_e32 vcc, 0, v5
	s_lshl_b64 s[0:1], s[6:7], 2
	s_add_u32 s0, s2, s0
	s_waitcnt lgkmcnt(1)
	v_cndmask_b32_e32 v5, v6, v8, vcc
	ds_read2_b32 v[6:7], v4 offset1:1
	s_waitcnt lgkmcnt(1)
	v_lshl_add_u32 v0, v0, 16, v5
	ds_read2_b32 v[8:9], v4 offset0:2 offset1:3
	ds_read2_b32 v[10:11], v4 offset0:4 offset1:5
	ds_read_b32 v5, v4 offset:24
	s_addc_u32 s1, s3, s1
	s_waitcnt lgkmcnt(3)
	v_add_u32_e32 v6, v0, v6
	ds_write2_b32 v4, v0, v6 offset1:1
	v_add_u32_e32 v0, v7, v6
	s_waitcnt lgkmcnt(3)
	v_add_u32_e32 v6, v8, v0
	ds_write2_b32 v4, v0, v6 offset0:2 offset1:3
	v_add_u32_e32 v0, v9, v6
	s_waitcnt lgkmcnt(3)
	v_add_u32_e32 v6, v10, v0
	ds_write2_b32 v4, v0, v6 offset0:4 offset1:5
	;; [unrolled: 4-line block ×3, first 2 shown]
	s_waitcnt lgkmcnt(0)
	s_barrier
	ds_read_u16 v0, v2
	s_waitcnt lgkmcnt(0)
	v_add_u32_sdwa v0, v0, v3 dst_sel:DWORD dst_unused:UNUSED_PAD src0_sel:DWORD src1_sel:WORD_0
	global_store_dword v1, v0, s[0:1]
	s_endpgm
	.section	.rodata,"a",@progbits
	.p2align	6, 0x0
	.amdhsa_kernel _Z11rank_kernelILj512ELj1ELj4ELb1EL18RadixRankAlgorithm0EtEvPKT4_Pijj
		.amdhsa_group_segment_fixed_size 16416
		.amdhsa_private_segment_fixed_size 0
		.amdhsa_kernarg_size 24
		.amdhsa_user_sgpr_count 6
		.amdhsa_user_sgpr_private_segment_buffer 1
		.amdhsa_user_sgpr_dispatch_ptr 0
		.amdhsa_user_sgpr_queue_ptr 0
		.amdhsa_user_sgpr_kernarg_segment_ptr 1
		.amdhsa_user_sgpr_dispatch_id 0
		.amdhsa_user_sgpr_flat_scratch_init 0
		.amdhsa_user_sgpr_kernarg_preload_length 0
		.amdhsa_user_sgpr_kernarg_preload_offset 0
		.amdhsa_user_sgpr_private_segment_size 0
		.amdhsa_uses_dynamic_stack 0
		.amdhsa_system_sgpr_private_segment_wavefront_offset 0
		.amdhsa_system_sgpr_workgroup_id_x 1
		.amdhsa_system_sgpr_workgroup_id_y 0
		.amdhsa_system_sgpr_workgroup_id_z 0
		.amdhsa_system_sgpr_workgroup_info 0
		.amdhsa_system_vgpr_workitem_id 0
		.amdhsa_next_free_vgpr 14
		.amdhsa_next_free_sgpr 12
		.amdhsa_accum_offset 16
		.amdhsa_reserve_vcc 1
		.amdhsa_reserve_flat_scratch 0
		.amdhsa_float_round_mode_32 0
		.amdhsa_float_round_mode_16_64 0
		.amdhsa_float_denorm_mode_32 3
		.amdhsa_float_denorm_mode_16_64 3
		.amdhsa_dx10_clamp 1
		.amdhsa_ieee_mode 1
		.amdhsa_fp16_overflow 0
		.amdhsa_tg_split 0
		.amdhsa_exception_fp_ieee_invalid_op 0
		.amdhsa_exception_fp_denorm_src 0
		.amdhsa_exception_fp_ieee_div_zero 0
		.amdhsa_exception_fp_ieee_overflow 0
		.amdhsa_exception_fp_ieee_underflow 0
		.amdhsa_exception_fp_ieee_inexact 0
		.amdhsa_exception_int_div_zero 0
	.end_amdhsa_kernel
	.section	.text._Z11rank_kernelILj512ELj1ELj4ELb1EL18RadixRankAlgorithm0EtEvPKT4_Pijj,"axG",@progbits,_Z11rank_kernelILj512ELj1ELj4ELb1EL18RadixRankAlgorithm0EtEvPKT4_Pijj,comdat
.Lfunc_end20:
	.size	_Z11rank_kernelILj512ELj1ELj4ELb1EL18RadixRankAlgorithm0EtEvPKT4_Pijj, .Lfunc_end20-_Z11rank_kernelILj512ELj1ELj4ELb1EL18RadixRankAlgorithm0EtEvPKT4_Pijj
                                        ; -- End function
	.section	.AMDGPU.csdata,"",@progbits
; Kernel info:
; codeLenInByte = 1020
; NumSgprs: 16
; NumVgprs: 14
; NumAgprs: 0
; TotalNumVgprs: 14
; ScratchSize: 0
; MemoryBound: 0
; FloatMode: 240
; IeeeMode: 1
; LDSByteSize: 16416 bytes/workgroup (compile time only)
; SGPRBlocks: 1
; VGPRBlocks: 1
; NumSGPRsForWavesPerEU: 16
; NumVGPRsForWavesPerEU: 14
; AccumOffset: 16
; Occupancy: 6
; WaveLimiterHint : 0
; COMPUTE_PGM_RSRC2:SCRATCH_EN: 0
; COMPUTE_PGM_RSRC2:USER_SGPR: 6
; COMPUTE_PGM_RSRC2:TRAP_HANDLER: 0
; COMPUTE_PGM_RSRC2:TGID_X_EN: 1
; COMPUTE_PGM_RSRC2:TGID_Y_EN: 0
; COMPUTE_PGM_RSRC2:TGID_Z_EN: 0
; COMPUTE_PGM_RSRC2:TIDIG_COMP_CNT: 0
; COMPUTE_PGM_RSRC3_GFX90A:ACCUM_OFFSET: 3
; COMPUTE_PGM_RSRC3_GFX90A:TG_SPLIT: 0
	.section	.text._Z11rank_kernelILj256ELj1ELj4ELb0EL18RadixRankAlgorithm0EfEvPKT4_Pijj,"axG",@progbits,_Z11rank_kernelILj256ELj1ELj4ELb0EL18RadixRankAlgorithm0EfEvPKT4_Pijj,comdat
	.protected	_Z11rank_kernelILj256ELj1ELj4ELb0EL18RadixRankAlgorithm0EfEvPKT4_Pijj ; -- Begin function _Z11rank_kernelILj256ELj1ELj4ELb0EL18RadixRankAlgorithm0EfEvPKT4_Pijj
	.globl	_Z11rank_kernelILj256ELj1ELj4ELb0EL18RadixRankAlgorithm0EfEvPKT4_Pijj
	.p2align	8
	.type	_Z11rank_kernelILj256ELj1ELj4ELb0EL18RadixRankAlgorithm0EfEvPKT4_Pijj,@function
_Z11rank_kernelILj256ELj1ELj4ELb0EL18RadixRankAlgorithm0EfEvPKT4_Pijj: ; @_Z11rank_kernelILj256ELj1ELj4ELb0EL18RadixRankAlgorithm0EfEvPKT4_Pijj
; %bb.0:
	s_load_dwordx4 s[0:3], s[4:5], 0x0
	s_lshl_b32 s8, s6, 8
	s_mov_b32 s9, 0
	s_lshl_b64 s[6:7], s[8:9], 2
	v_lshlrev_b32_e32 v1, 2, v0
	s_waitcnt lgkmcnt(0)
	s_add_u32 s0, s0, s6
	s_addc_u32 s1, s1, s7
	global_load_dword v4, v1, s[0:1]
	v_or_b32_e32 v1, 0x100, v0
	v_mov_b32_e32 v5, 0
	s_mov_b64 s[0:1], 0
	v_pk_mov_b32 v[2:3], v[0:1], v[0:1] op_sel:[0,1]
	s_branch .LBB21_2
.LBB21_1:                               ;   in Loop: Header=BB21_2 Depth=1
	s_or_b64 exec, exec, s[12:13]
	s_add_i32 s9, s9, 2
	v_cmp_eq_u32_e64 s[10:11], 8, s9
	v_add_u32_e32 v3, 0x200, v3
	s_or_b64 s[0:1], s[10:11], s[0:1]
	v_add_u32_e32 v2, 0x200, v2
	s_andn2_b64 exec, exec, s[0:1]
	s_cbranch_execz .LBB21_6
.LBB21_2:                               ; =>This Inner Loop Header: Depth=1
	s_or_b32 s8, s9, 1
	v_cmp_le_u32_e64 s[10:11], s8, 7
	v_cmp_le_u32_e64 s[14:15], s9, 7
	s_and_saveexec_b64 s[12:13], s[14:15]
	s_cbranch_execz .LBB21_4
; %bb.3:                                ;   in Loop: Header=BB21_2 Depth=1
	v_lshlrev_b32_e32 v1, 2, v2
	ds_write_b32 v1, v5
.LBB21_4:                               ;   in Loop: Header=BB21_2 Depth=1
	s_or_b64 exec, exec, s[12:13]
	s_and_saveexec_b64 s[12:13], s[10:11]
	s_cbranch_execz .LBB21_1
; %bb.5:                                ;   in Loop: Header=BB21_2 Depth=1
	v_lshlrev_b32_e32 v1, 2, v3
	ds_write_b32 v1, v5
	s_branch .LBB21_1
.LBB21_6:
	s_or_b64 exec, exec, s[0:1]
	s_load_dwordx2 s[0:1], s[4:5], 0x10
	v_bfrev_b32_e32 v1, 1
	s_waitcnt vmcnt(0)
	v_cmp_lt_i32_e32 vcc, -1, v4
	v_cndmask_b32_e32 v2, -1, v1, vcc
	v_xor_b32_e32 v2, v2, v4
	s_brev_b32 s4, -2
	s_waitcnt lgkmcnt(0)
	s_and_b32 s1, s1, 31
	s_and_b32 s0, s0, 31
	v_cmp_ne_u32_e32 vcc, s4, v2
	s_add_i32 s0, s0, s1
	v_cndmask_b32_e32 v1, v1, v2, vcc
	s_sub_i32 s0, 32, s0
	v_lshlrev_b32_e32 v1, s0, v1
	s_sub_i32 s0, 32, s1
	s_cmp_lg_u32 s1, 0
	v_lshrrev_b32_e32 v1, s0, v1
	s_cselect_b64 vcc, -1, 0
	v_cndmask_b32_e32 v1, 0, v1, vcc
	v_lshrrev_b32_e32 v2, 3, v1
	v_lshlrev_b32_e32 v1, 8, v1
	s_movk_i32 s0, 0x700
	v_and_or_b32 v1, v1, s0, v0
	v_lshlrev_b32_e32 v1, 1, v1
	v_add_lshl_u32 v1, v1, v2, 1
	ds_read_u16 v2, v1
	s_waitcnt lgkmcnt(0)
	v_add_u16_e32 v3, 1, v2
	ds_write_b16 v1, v3
	v_lshlrev_b32_e32 v3, 5, v0
	s_waitcnt lgkmcnt(0)
	s_barrier
	ds_read2_b32 v[4:5], v3 offset1:1
	ds_read2_b32 v[6:7], v3 offset0:2 offset1:3
	ds_read2_b32 v[8:9], v3 offset0:4 offset1:5
	;; [unrolled: 1-line block ×3, first 2 shown]
	s_waitcnt lgkmcnt(3)
	v_add_u32_e32 v4, v5, v4
	s_waitcnt lgkmcnt(2)
	v_add3_u32 v4, v4, v6, v7
	s_waitcnt lgkmcnt(1)
	v_add3_u32 v4, v4, v8, v9
	;; [unrolled: 2-line block ×3, first 2 shown]
	v_mbcnt_lo_u32_b32 v4, -1, 0
	v_mbcnt_hi_u32_b32 v4, -1, v4
	v_and_b32_e32 v6, 15, v4
	v_mov_b32_dpp v7, v5 row_shr:1 row_mask:0xf bank_mask:0xf
	v_cmp_ne_u32_e32 vcc, 0, v6
	v_cndmask_b32_e32 v7, 0, v7, vcc
	v_add_u32_e32 v5, v7, v5
	v_cmp_lt_u32_e32 vcc, 1, v6
	s_nop 0
	v_mov_b32_dpp v7, v5 row_shr:2 row_mask:0xf bank_mask:0xf
	v_cndmask_b32_e32 v7, 0, v7, vcc
	v_add_u32_e32 v5, v5, v7
	v_cmp_lt_u32_e32 vcc, 3, v6
	s_nop 0
	v_mov_b32_dpp v7, v5 row_shr:4 row_mask:0xf bank_mask:0xf
	;; [unrolled: 5-line block ×3, first 2 shown]
	v_cndmask_b32_e32 v6, 0, v7, vcc
	v_add_u32_e32 v5, v5, v6
	v_bfe_i32 v7, v4, 4, 1
	v_cmp_lt_u32_e32 vcc, 31, v4
	v_mov_b32_dpp v6, v5 row_bcast:15 row_mask:0xf bank_mask:0xf
	v_and_b32_e32 v6, v7, v6
	v_add_u32_e32 v5, v5, v6
	v_or_b32_e32 v7, 63, v0
	s_nop 0
	v_mov_b32_dpp v6, v5 row_bcast:31 row_mask:0xf bank_mask:0xf
	v_cndmask_b32_e32 v6, 0, v6, vcc
	v_add_u32_e32 v6, v5, v6
	v_lshrrev_b32_e32 v5, 6, v0
	v_cmp_eq_u32_e32 vcc, v7, v0
	v_lshlrev_b32_e32 v7, 2, v5
	s_and_saveexec_b64 s[0:1], vcc
	s_cbranch_execz .LBB21_8
; %bb.7:
	ds_write_b32 v7, v6 offset:8192
.LBB21_8:
	s_or_b64 exec, exec, s[0:1]
	v_cmp_gt_u32_e32 vcc, 4, v0
	v_lshlrev_b32_e32 v5, 2, v0
	s_waitcnt lgkmcnt(0)
	s_barrier
	s_and_saveexec_b64 s[0:1], vcc
	s_cbranch_execz .LBB21_10
; %bb.9:
	ds_read_b32 v8, v5 offset:8192
	v_and_b32_e32 v9, 3, v4
	v_cmp_ne_u32_e32 vcc, 0, v9
	s_waitcnt lgkmcnt(0)
	v_mov_b32_dpp v10, v8 row_shr:1 row_mask:0xf bank_mask:0xf
	v_cndmask_b32_e32 v10, 0, v10, vcc
	v_add_u32_e32 v8, v10, v8
	v_cmp_lt_u32_e32 vcc, 1, v9
	s_nop 0
	v_mov_b32_dpp v10, v8 row_shr:2 row_mask:0xf bank_mask:0xf
	v_cndmask_b32_e32 v9, 0, v10, vcc
	v_add_u32_e32 v8, v8, v9
	ds_write_b32 v5, v8 offset:8192
.LBB21_10:
	s_or_b64 exec, exec, s[0:1]
	v_cmp_lt_u32_e32 vcc, 63, v0
	v_mov_b32_e32 v0, 0
	v_mov_b32_e32 v8, 0
	s_waitcnt lgkmcnt(0)
	s_barrier
	s_and_saveexec_b64 s[0:1], vcc
	s_cbranch_execz .LBB21_12
; %bb.11:
	ds_read_b32 v8, v7 offset:8188
.LBB21_12:
	s_or_b64 exec, exec, s[0:1]
	v_add_u32_e32 v7, -1, v4
	v_and_b32_e32 v9, 64, v4
	v_cmp_lt_i32_e32 vcc, v7, v9
	v_cndmask_b32_e32 v7, v7, v4, vcc
	s_waitcnt lgkmcnt(0)
	v_add_u32_e32 v6, v8, v6
	v_lshlrev_b32_e32 v7, 2, v7
	ds_bpermute_b32 v6, v7, v6
	ds_read_b32 v0, v0 offset:8204
	v_cmp_eq_u32_e32 vcc, 0, v4
	s_add_u32 s0, s2, s6
	s_addc_u32 s1, s3, s7
	s_waitcnt lgkmcnt(1)
	v_cndmask_b32_e32 v4, v6, v8, vcc
	ds_read2_b32 v[6:7], v3 offset1:1
	s_waitcnt lgkmcnt(1)
	v_lshl_add_u32 v0, v0, 16, v4
	ds_read2_b32 v[8:9], v3 offset0:2 offset1:3
	ds_read2_b32 v[10:11], v3 offset0:4 offset1:5
	ds_read_b32 v4, v3 offset:24
	s_waitcnt lgkmcnt(3)
	v_add_u32_e32 v6, v0, v6
	ds_write2_b32 v3, v0, v6 offset1:1
	v_add_u32_e32 v0, v7, v6
	s_waitcnt lgkmcnt(3)
	v_add_u32_e32 v6, v8, v0
	ds_write2_b32 v3, v0, v6 offset0:2 offset1:3
	v_add_u32_e32 v0, v9, v6
	s_waitcnt lgkmcnt(3)
	v_add_u32_e32 v6, v10, v0
	ds_write2_b32 v3, v0, v6 offset0:4 offset1:5
	;; [unrolled: 4-line block ×3, first 2 shown]
	s_waitcnt lgkmcnt(0)
	s_barrier
	ds_read_u16 v0, v1
	s_waitcnt lgkmcnt(0)
	v_add_u32_sdwa v0, v0, v2 dst_sel:DWORD dst_unused:UNUSED_PAD src0_sel:DWORD src1_sel:WORD_0
	global_store_dword v5, v0, s[0:1]
	s_endpgm
	.section	.rodata,"a",@progbits
	.p2align	6, 0x0
	.amdhsa_kernel _Z11rank_kernelILj256ELj1ELj4ELb0EL18RadixRankAlgorithm0EfEvPKT4_Pijj
		.amdhsa_group_segment_fixed_size 8208
		.amdhsa_private_segment_fixed_size 0
		.amdhsa_kernarg_size 24
		.amdhsa_user_sgpr_count 6
		.amdhsa_user_sgpr_private_segment_buffer 1
		.amdhsa_user_sgpr_dispatch_ptr 0
		.amdhsa_user_sgpr_queue_ptr 0
		.amdhsa_user_sgpr_kernarg_segment_ptr 1
		.amdhsa_user_sgpr_dispatch_id 0
		.amdhsa_user_sgpr_flat_scratch_init 0
		.amdhsa_user_sgpr_kernarg_preload_length 0
		.amdhsa_user_sgpr_kernarg_preload_offset 0
		.amdhsa_user_sgpr_private_segment_size 0
		.amdhsa_uses_dynamic_stack 0
		.amdhsa_system_sgpr_private_segment_wavefront_offset 0
		.amdhsa_system_sgpr_workgroup_id_x 1
		.amdhsa_system_sgpr_workgroup_id_y 0
		.amdhsa_system_sgpr_workgroup_id_z 0
		.amdhsa_system_sgpr_workgroup_info 0
		.amdhsa_system_vgpr_workitem_id 0
		.amdhsa_next_free_vgpr 12
		.amdhsa_next_free_sgpr 16
		.amdhsa_accum_offset 12
		.amdhsa_reserve_vcc 1
		.amdhsa_reserve_flat_scratch 0
		.amdhsa_float_round_mode_32 0
		.amdhsa_float_round_mode_16_64 0
		.amdhsa_float_denorm_mode_32 3
		.amdhsa_float_denorm_mode_16_64 3
		.amdhsa_dx10_clamp 1
		.amdhsa_ieee_mode 1
		.amdhsa_fp16_overflow 0
		.amdhsa_tg_split 0
		.amdhsa_exception_fp_ieee_invalid_op 0
		.amdhsa_exception_fp_denorm_src 0
		.amdhsa_exception_fp_ieee_div_zero 0
		.amdhsa_exception_fp_ieee_overflow 0
		.amdhsa_exception_fp_ieee_underflow 0
		.amdhsa_exception_fp_ieee_inexact 0
		.amdhsa_exception_int_div_zero 0
	.end_amdhsa_kernel
	.section	.text._Z11rank_kernelILj256ELj1ELj4ELb0EL18RadixRankAlgorithm0EfEvPKT4_Pijj,"axG",@progbits,_Z11rank_kernelILj256ELj1ELj4ELb0EL18RadixRankAlgorithm0EfEvPKT4_Pijj,comdat
.Lfunc_end21:
	.size	_Z11rank_kernelILj256ELj1ELj4ELb0EL18RadixRankAlgorithm0EfEvPKT4_Pijj, .Lfunc_end21-_Z11rank_kernelILj256ELj1ELj4ELb0EL18RadixRankAlgorithm0EfEvPKT4_Pijj
                                        ; -- End function
	.section	.AMDGPU.csdata,"",@progbits
; Kernel info:
; codeLenInByte = 972
; NumSgprs: 20
; NumVgprs: 12
; NumAgprs: 0
; TotalNumVgprs: 12
; ScratchSize: 0
; MemoryBound: 0
; FloatMode: 240
; IeeeMode: 1
; LDSByteSize: 8208 bytes/workgroup (compile time only)
; SGPRBlocks: 2
; VGPRBlocks: 1
; NumSGPRsForWavesPerEU: 20
; NumVGPRsForWavesPerEU: 12
; AccumOffset: 12
; Occupancy: 7
; WaveLimiterHint : 0
; COMPUTE_PGM_RSRC2:SCRATCH_EN: 0
; COMPUTE_PGM_RSRC2:USER_SGPR: 6
; COMPUTE_PGM_RSRC2:TRAP_HANDLER: 0
; COMPUTE_PGM_RSRC2:TGID_X_EN: 1
; COMPUTE_PGM_RSRC2:TGID_Y_EN: 0
; COMPUTE_PGM_RSRC2:TGID_Z_EN: 0
; COMPUTE_PGM_RSRC2:TIDIG_COMP_CNT: 0
; COMPUTE_PGM_RSRC3_GFX90A:ACCUM_OFFSET: 2
; COMPUTE_PGM_RSRC3_GFX90A:TG_SPLIT: 0
	.section	.text._Z11rank_kernelILj128ELj1ELj4ELb0EL18RadixRankAlgorithm0E12hip_bfloat16EvPKT4_Pijj,"axG",@progbits,_Z11rank_kernelILj128ELj1ELj4ELb0EL18RadixRankAlgorithm0E12hip_bfloat16EvPKT4_Pijj,comdat
	.protected	_Z11rank_kernelILj128ELj1ELj4ELb0EL18RadixRankAlgorithm0E12hip_bfloat16EvPKT4_Pijj ; -- Begin function _Z11rank_kernelILj128ELj1ELj4ELb0EL18RadixRankAlgorithm0E12hip_bfloat16EvPKT4_Pijj
	.globl	_Z11rank_kernelILj128ELj1ELj4ELb0EL18RadixRankAlgorithm0E12hip_bfloat16EvPKT4_Pijj
	.p2align	8
	.type	_Z11rank_kernelILj128ELj1ELj4ELb0EL18RadixRankAlgorithm0E12hip_bfloat16EvPKT4_Pijj,@function
_Z11rank_kernelILj128ELj1ELj4ELb0EL18RadixRankAlgorithm0E12hip_bfloat16EvPKT4_Pijj: ; @_Z11rank_kernelILj128ELj1ELj4ELb0EL18RadixRankAlgorithm0E12hip_bfloat16EvPKT4_Pijj
; %bb.0:
	s_load_dwordx4 s[0:3], s[4:5], 0x0
	s_lshl_b32 s6, s6, 7
	s_mov_b32 s7, 0
	s_lshl_b64 s[8:9], s[6:7], 1
	v_lshlrev_b32_e32 v1, 1, v0
	s_waitcnt lgkmcnt(0)
	s_add_u32 s0, s0, s8
	s_addc_u32 s1, s1, s9
	global_load_ushort v4, v1, s[0:1]
	v_or_b32_e32 v1, 0x80, v0
	v_mov_b32_e32 v5, 0
	s_mov_b64 s[0:1], 0
	s_mov_b32 s12, s7
	v_pk_mov_b32 v[2:3], v[0:1], v[0:1] op_sel:[0,1]
	s_branch .LBB22_2
.LBB22_1:                               ;   in Loop: Header=BB22_2 Depth=1
	s_or_b64 exec, exec, s[10:11]
	s_add_i32 s12, s12, 2
	v_cmp_eq_u32_e64 s[8:9], 8, s12
	v_add_u32_e32 v3, 0x100, v3
	s_or_b64 s[0:1], s[8:9], s[0:1]
	v_add_u32_e32 v2, 0x100, v2
	s_andn2_b64 exec, exec, s[0:1]
	s_cbranch_execz .LBB22_6
.LBB22_2:                               ; =>This Inner Loop Header: Depth=1
	s_or_b32 s8, s12, 1
	v_cmp_le_u32_e64 s[8:9], s8, 7
	v_cmp_le_u32_e64 s[14:15], s12, 7
	s_and_saveexec_b64 s[10:11], s[14:15]
	s_cbranch_execz .LBB22_4
; %bb.3:                                ;   in Loop: Header=BB22_2 Depth=1
	v_lshlrev_b32_e32 v1, 2, v2
	ds_write_b32 v1, v5
.LBB22_4:                               ;   in Loop: Header=BB22_2 Depth=1
	s_or_b64 exec, exec, s[10:11]
	s_and_saveexec_b64 s[10:11], s[8:9]
	s_cbranch_execz .LBB22_1
; %bb.5:                                ;   in Loop: Header=BB22_2 Depth=1
	v_lshlrev_b32_e32 v1, 2, v3
	ds_write_b32 v1, v5
	s_branch .LBB22_1
.LBB22_6:
	s_or_b64 exec, exec, s[0:1]
	s_load_dwordx2 s[0:1], s[4:5], 0x10
	v_mov_b32_e32 v1, 0xffff8000
	s_waitcnt vmcnt(0)
	v_cmp_lt_i16_e32 vcc, -1, v4
	v_cndmask_b32_e32 v2, -1, v1, vcc
	v_xor_b32_e32 v2, v2, v4
	s_movk_i32 s4, 0x7fff
	s_waitcnt lgkmcnt(0)
	s_and_b32 s1, s1, 31
	s_and_b32 s0, s0, 31
	v_cmp_ne_u16_e32 vcc, s4, v2
	s_add_i32 s0, s0, s1
	v_cndmask_b32_e32 v1, v1, v2, vcc
	s_sub_i32 s0, 32, s0
	v_lshlrev_b32_sdwa v1, s0, v1 dst_sel:DWORD dst_unused:UNUSED_PAD src0_sel:DWORD src1_sel:WORD_0
	s_sub_i32 s0, 32, s1
	s_cmp_lg_u32 s1, 0
	v_bfe_u32 v1, v1, s0, 16
	s_cselect_b64 vcc, -1, 0
	v_cndmask_b32_e32 v1, 0, v1, vcc
	v_lshrrev_b32_e32 v2, 3, v1
	v_lshlrev_b32_e32 v1, 7, v1
	s_movk_i32 s0, 0x380
	v_and_or_b32 v1, v1, s0, v0
	v_lshlrev_b32_e32 v1, 1, v1
	v_add_lshl_u32 v1, v1, v2, 1
	ds_read_u16 v2, v1
	s_waitcnt lgkmcnt(0)
	v_add_u16_e32 v3, 1, v2
	ds_write_b16 v1, v3
	v_lshlrev_b32_e32 v3, 5, v0
	s_waitcnt lgkmcnt(0)
	s_barrier
	ds_read2_b32 v[4:5], v3 offset1:1
	ds_read2_b32 v[6:7], v3 offset0:2 offset1:3
	ds_read2_b32 v[8:9], v3 offset0:4 offset1:5
	;; [unrolled: 1-line block ×3, first 2 shown]
	s_waitcnt lgkmcnt(3)
	v_add_u32_e32 v4, v5, v4
	s_waitcnt lgkmcnt(2)
	v_add3_u32 v4, v4, v6, v7
	s_waitcnt lgkmcnt(1)
	v_add3_u32 v4, v4, v8, v9
	;; [unrolled: 2-line block ×3, first 2 shown]
	v_mbcnt_lo_u32_b32 v4, -1, 0
	v_mbcnt_hi_u32_b32 v4, -1, v4
	v_and_b32_e32 v6, 15, v4
	v_mov_b32_dpp v7, v5 row_shr:1 row_mask:0xf bank_mask:0xf
	v_cmp_ne_u32_e32 vcc, 0, v6
	v_cndmask_b32_e32 v7, 0, v7, vcc
	v_add_u32_e32 v5, v7, v5
	v_cmp_lt_u32_e32 vcc, 1, v6
	s_nop 0
	v_mov_b32_dpp v7, v5 row_shr:2 row_mask:0xf bank_mask:0xf
	v_cndmask_b32_e32 v7, 0, v7, vcc
	v_add_u32_e32 v5, v5, v7
	v_cmp_lt_u32_e32 vcc, 3, v6
	s_nop 0
	v_mov_b32_dpp v7, v5 row_shr:4 row_mask:0xf bank_mask:0xf
	;; [unrolled: 5-line block ×3, first 2 shown]
	v_cndmask_b32_e32 v6, 0, v7, vcc
	v_add_u32_e32 v5, v5, v6
	v_bfe_i32 v7, v4, 4, 1
	v_cmp_lt_u32_e32 vcc, 31, v4
	v_mov_b32_dpp v6, v5 row_bcast:15 row_mask:0xf bank_mask:0xf
	v_and_b32_e32 v6, v7, v6
	v_add_u32_e32 v5, v5, v6
	v_or_b32_e32 v7, 63, v0
	s_nop 0
	v_mov_b32_dpp v6, v5 row_bcast:31 row_mask:0xf bank_mask:0xf
	v_cndmask_b32_e32 v6, 0, v6, vcc
	v_add_u32_e32 v6, v5, v6
	v_lshrrev_b32_e32 v5, 6, v0
	v_cmp_eq_u32_e32 vcc, v7, v0
	v_lshlrev_b32_e32 v7, 2, v5
	s_and_saveexec_b64 s[0:1], vcc
	s_cbranch_execz .LBB22_8
; %bb.7:
	ds_write_b32 v7, v6 offset:4096
.LBB22_8:
	s_or_b64 exec, exec, s[0:1]
	v_cmp_gt_u32_e32 vcc, 2, v0
	v_lshlrev_b32_e32 v5, 2, v0
	s_waitcnt lgkmcnt(0)
	s_barrier
	s_and_saveexec_b64 s[0:1], vcc
	s_cbranch_execz .LBB22_10
; %bb.9:
	ds_read_b32 v8, v5 offset:4096
	v_bfe_i32 v9, v4, 0, 1
	s_waitcnt lgkmcnt(0)
	v_mov_b32_dpp v10, v8 row_shr:1 row_mask:0xf bank_mask:0xf
	v_and_b32_e32 v9, v9, v10
	v_add_u32_e32 v8, v9, v8
	ds_write_b32 v5, v8 offset:4096
.LBB22_10:
	s_or_b64 exec, exec, s[0:1]
	v_cmp_lt_u32_e32 vcc, 63, v0
	v_mov_b32_e32 v0, 0
	v_mov_b32_e32 v8, 0
	s_waitcnt lgkmcnt(0)
	s_barrier
	s_and_saveexec_b64 s[0:1], vcc
	s_cbranch_execz .LBB22_12
; %bb.11:
	ds_read_b32 v8, v7 offset:4092
.LBB22_12:
	s_or_b64 exec, exec, s[0:1]
	v_add_u32_e32 v7, -1, v4
	v_and_b32_e32 v9, 64, v4
	v_cmp_lt_i32_e32 vcc, v7, v9
	v_cndmask_b32_e32 v7, v7, v4, vcc
	s_waitcnt lgkmcnt(0)
	v_add_u32_e32 v6, v8, v6
	v_lshlrev_b32_e32 v7, 2, v7
	ds_bpermute_b32 v6, v7, v6
	ds_read_b32 v0, v0 offset:4100
	v_cmp_eq_u32_e32 vcc, 0, v4
	s_lshl_b64 s[0:1], s[6:7], 2
	s_add_u32 s0, s2, s0
	s_waitcnt lgkmcnt(1)
	v_cndmask_b32_e32 v4, v6, v8, vcc
	ds_read2_b32 v[6:7], v3 offset1:1
	s_waitcnt lgkmcnt(1)
	v_lshl_add_u32 v0, v0, 16, v4
	ds_read2_b32 v[8:9], v3 offset0:2 offset1:3
	ds_read2_b32 v[10:11], v3 offset0:4 offset1:5
	ds_read_b32 v4, v3 offset:24
	s_addc_u32 s1, s3, s1
	s_waitcnt lgkmcnt(3)
	v_add_u32_e32 v6, v0, v6
	ds_write2_b32 v3, v0, v6 offset1:1
	v_add_u32_e32 v0, v7, v6
	s_waitcnt lgkmcnt(3)
	v_add_u32_e32 v6, v8, v0
	ds_write2_b32 v3, v0, v6 offset0:2 offset1:3
	v_add_u32_e32 v0, v9, v6
	s_waitcnt lgkmcnt(3)
	v_add_u32_e32 v6, v10, v0
	ds_write2_b32 v3, v0, v6 offset0:4 offset1:5
	;; [unrolled: 4-line block ×3, first 2 shown]
	s_waitcnt lgkmcnt(0)
	s_barrier
	ds_read_u16 v0, v1
	s_waitcnt lgkmcnt(0)
	v_add_u32_sdwa v0, v0, v2 dst_sel:DWORD dst_unused:UNUSED_PAD src0_sel:DWORD src1_sel:WORD_0
	global_store_dword v5, v0, s[0:1]
	s_endpgm
	.section	.rodata,"a",@progbits
	.p2align	6, 0x0
	.amdhsa_kernel _Z11rank_kernelILj128ELj1ELj4ELb0EL18RadixRankAlgorithm0E12hip_bfloat16EvPKT4_Pijj
		.amdhsa_group_segment_fixed_size 4112
		.amdhsa_private_segment_fixed_size 0
		.amdhsa_kernarg_size 24
		.amdhsa_user_sgpr_count 6
		.amdhsa_user_sgpr_private_segment_buffer 1
		.amdhsa_user_sgpr_dispatch_ptr 0
		.amdhsa_user_sgpr_queue_ptr 0
		.amdhsa_user_sgpr_kernarg_segment_ptr 1
		.amdhsa_user_sgpr_dispatch_id 0
		.amdhsa_user_sgpr_flat_scratch_init 0
		.amdhsa_user_sgpr_kernarg_preload_length 0
		.amdhsa_user_sgpr_kernarg_preload_offset 0
		.amdhsa_user_sgpr_private_segment_size 0
		.amdhsa_uses_dynamic_stack 0
		.amdhsa_system_sgpr_private_segment_wavefront_offset 0
		.amdhsa_system_sgpr_workgroup_id_x 1
		.amdhsa_system_sgpr_workgroup_id_y 0
		.amdhsa_system_sgpr_workgroup_id_z 0
		.amdhsa_system_sgpr_workgroup_info 0
		.amdhsa_system_vgpr_workitem_id 0
		.amdhsa_next_free_vgpr 12
		.amdhsa_next_free_sgpr 16
		.amdhsa_accum_offset 12
		.amdhsa_reserve_vcc 1
		.amdhsa_reserve_flat_scratch 0
		.amdhsa_float_round_mode_32 0
		.amdhsa_float_round_mode_16_64 0
		.amdhsa_float_denorm_mode_32 3
		.amdhsa_float_denorm_mode_16_64 3
		.amdhsa_dx10_clamp 1
		.amdhsa_ieee_mode 1
		.amdhsa_fp16_overflow 0
		.amdhsa_tg_split 0
		.amdhsa_exception_fp_ieee_invalid_op 0
		.amdhsa_exception_fp_denorm_src 0
		.amdhsa_exception_fp_ieee_div_zero 0
		.amdhsa_exception_fp_ieee_overflow 0
		.amdhsa_exception_fp_ieee_underflow 0
		.amdhsa_exception_fp_ieee_inexact 0
		.amdhsa_exception_int_div_zero 0
	.end_amdhsa_kernel
	.section	.text._Z11rank_kernelILj128ELj1ELj4ELb0EL18RadixRankAlgorithm0E12hip_bfloat16EvPKT4_Pijj,"axG",@progbits,_Z11rank_kernelILj128ELj1ELj4ELb0EL18RadixRankAlgorithm0E12hip_bfloat16EvPKT4_Pijj,comdat
.Lfunc_end22:
	.size	_Z11rank_kernelILj128ELj1ELj4ELb0EL18RadixRankAlgorithm0E12hip_bfloat16EvPKT4_Pijj, .Lfunc_end22-_Z11rank_kernelILj128ELj1ELj4ELb0EL18RadixRankAlgorithm0E12hip_bfloat16EvPKT4_Pijj
                                        ; -- End function
	.section	.AMDGPU.csdata,"",@progbits
; Kernel info:
; codeLenInByte = 968
; NumSgprs: 20
; NumVgprs: 12
; NumAgprs: 0
; TotalNumVgprs: 12
; ScratchSize: 0
; MemoryBound: 0
; FloatMode: 240
; IeeeMode: 1
; LDSByteSize: 4112 bytes/workgroup (compile time only)
; SGPRBlocks: 2
; VGPRBlocks: 1
; NumSGPRsForWavesPerEU: 20
; NumVGPRsForWavesPerEU: 12
; AccumOffset: 12
; Occupancy: 8
; WaveLimiterHint : 0
; COMPUTE_PGM_RSRC2:SCRATCH_EN: 0
; COMPUTE_PGM_RSRC2:USER_SGPR: 6
; COMPUTE_PGM_RSRC2:TRAP_HANDLER: 0
; COMPUTE_PGM_RSRC2:TGID_X_EN: 1
; COMPUTE_PGM_RSRC2:TGID_Y_EN: 0
; COMPUTE_PGM_RSRC2:TGID_Z_EN: 0
; COMPUTE_PGM_RSRC2:TIDIG_COMP_CNT: 0
; COMPUTE_PGM_RSRC3_GFX90A:ACCUM_OFFSET: 2
; COMPUTE_PGM_RSRC3_GFX90A:TG_SPLIT: 0
	.section	.text._Z11rank_kernelILj128ELj1ELj4ELb0EL18RadixRankAlgorithm0E6__halfEvPKT4_Pijj,"axG",@progbits,_Z11rank_kernelILj128ELj1ELj4ELb0EL18RadixRankAlgorithm0E6__halfEvPKT4_Pijj,comdat
	.protected	_Z11rank_kernelILj128ELj1ELj4ELb0EL18RadixRankAlgorithm0E6__halfEvPKT4_Pijj ; -- Begin function _Z11rank_kernelILj128ELj1ELj4ELb0EL18RadixRankAlgorithm0E6__halfEvPKT4_Pijj
	.globl	_Z11rank_kernelILj128ELj1ELj4ELb0EL18RadixRankAlgorithm0E6__halfEvPKT4_Pijj
	.p2align	8
	.type	_Z11rank_kernelILj128ELj1ELj4ELb0EL18RadixRankAlgorithm0E6__halfEvPKT4_Pijj,@function
_Z11rank_kernelILj128ELj1ELj4ELb0EL18RadixRankAlgorithm0E6__halfEvPKT4_Pijj: ; @_Z11rank_kernelILj128ELj1ELj4ELb0EL18RadixRankAlgorithm0E6__halfEvPKT4_Pijj
; %bb.0:
	s_load_dwordx4 s[0:3], s[4:5], 0x0
	s_lshl_b32 s6, s6, 7
	s_mov_b32 s7, 0
	s_lshl_b64 s[8:9], s[6:7], 1
	v_lshlrev_b32_e32 v1, 1, v0
	s_waitcnt lgkmcnt(0)
	s_add_u32 s0, s0, s8
	s_addc_u32 s1, s1, s9
	global_load_ushort v4, v1, s[0:1]
	v_or_b32_e32 v1, 0x80, v0
	v_mov_b32_e32 v5, 0
	s_mov_b64 s[0:1], 0
	s_mov_b32 s12, s7
	v_pk_mov_b32 v[2:3], v[0:1], v[0:1] op_sel:[0,1]
	s_branch .LBB23_2
.LBB23_1:                               ;   in Loop: Header=BB23_2 Depth=1
	s_or_b64 exec, exec, s[10:11]
	s_add_i32 s12, s12, 2
	v_cmp_eq_u32_e64 s[8:9], 8, s12
	v_add_u32_e32 v3, 0x100, v3
	s_or_b64 s[0:1], s[8:9], s[0:1]
	v_add_u32_e32 v2, 0x100, v2
	s_andn2_b64 exec, exec, s[0:1]
	s_cbranch_execz .LBB23_6
.LBB23_2:                               ; =>This Inner Loop Header: Depth=1
	s_or_b32 s8, s12, 1
	v_cmp_le_u32_e64 s[8:9], s8, 7
	v_cmp_le_u32_e64 s[14:15], s12, 7
	s_and_saveexec_b64 s[10:11], s[14:15]
	s_cbranch_execz .LBB23_4
; %bb.3:                                ;   in Loop: Header=BB23_2 Depth=1
	v_lshlrev_b32_e32 v1, 2, v2
	ds_write_b32 v1, v5
.LBB23_4:                               ;   in Loop: Header=BB23_2 Depth=1
	s_or_b64 exec, exec, s[10:11]
	s_and_saveexec_b64 s[10:11], s[8:9]
	s_cbranch_execz .LBB23_1
; %bb.5:                                ;   in Loop: Header=BB23_2 Depth=1
	v_lshlrev_b32_e32 v1, 2, v3
	ds_write_b32 v1, v5
	s_branch .LBB23_1
.LBB23_6:
	s_or_b64 exec, exec, s[0:1]
	s_load_dwordx2 s[0:1], s[4:5], 0x10
	v_mov_b32_e32 v1, 0xffff8000
	s_waitcnt vmcnt(0)
	v_cmp_lt_i16_e32 vcc, -1, v4
	v_cndmask_b32_e32 v2, -1, v1, vcc
	v_xor_b32_e32 v2, v2, v4
	s_movk_i32 s4, 0x7fff
	s_waitcnt lgkmcnt(0)
	s_and_b32 s1, s1, 31
	s_and_b32 s0, s0, 31
	v_cmp_ne_u16_e32 vcc, s4, v2
	s_add_i32 s0, s0, s1
	v_cndmask_b32_e32 v1, v1, v2, vcc
	s_sub_i32 s0, 32, s0
	v_lshlrev_b32_sdwa v1, s0, v1 dst_sel:DWORD dst_unused:UNUSED_PAD src0_sel:DWORD src1_sel:WORD_0
	s_sub_i32 s0, 32, s1
	s_cmp_lg_u32 s1, 0
	v_bfe_u32 v1, v1, s0, 16
	s_cselect_b64 vcc, -1, 0
	v_cndmask_b32_e32 v1, 0, v1, vcc
	v_lshrrev_b32_e32 v2, 3, v1
	v_lshlrev_b32_e32 v1, 7, v1
	s_movk_i32 s0, 0x380
	v_and_or_b32 v1, v1, s0, v0
	v_lshlrev_b32_e32 v1, 1, v1
	v_add_lshl_u32 v1, v1, v2, 1
	ds_read_u16 v2, v1
	s_waitcnt lgkmcnt(0)
	v_add_u16_e32 v3, 1, v2
	ds_write_b16 v1, v3
	v_lshlrev_b32_e32 v3, 5, v0
	s_waitcnt lgkmcnt(0)
	s_barrier
	ds_read2_b32 v[4:5], v3 offset1:1
	ds_read2_b32 v[6:7], v3 offset0:2 offset1:3
	ds_read2_b32 v[8:9], v3 offset0:4 offset1:5
	;; [unrolled: 1-line block ×3, first 2 shown]
	s_waitcnt lgkmcnt(3)
	v_add_u32_e32 v4, v5, v4
	s_waitcnt lgkmcnt(2)
	v_add3_u32 v4, v4, v6, v7
	s_waitcnt lgkmcnt(1)
	v_add3_u32 v4, v4, v8, v9
	;; [unrolled: 2-line block ×3, first 2 shown]
	v_mbcnt_lo_u32_b32 v4, -1, 0
	v_mbcnt_hi_u32_b32 v4, -1, v4
	v_and_b32_e32 v6, 15, v4
	v_mov_b32_dpp v7, v5 row_shr:1 row_mask:0xf bank_mask:0xf
	v_cmp_ne_u32_e32 vcc, 0, v6
	v_cndmask_b32_e32 v7, 0, v7, vcc
	v_add_u32_e32 v5, v7, v5
	v_cmp_lt_u32_e32 vcc, 1, v6
	s_nop 0
	v_mov_b32_dpp v7, v5 row_shr:2 row_mask:0xf bank_mask:0xf
	v_cndmask_b32_e32 v7, 0, v7, vcc
	v_add_u32_e32 v5, v5, v7
	v_cmp_lt_u32_e32 vcc, 3, v6
	s_nop 0
	v_mov_b32_dpp v7, v5 row_shr:4 row_mask:0xf bank_mask:0xf
	;; [unrolled: 5-line block ×3, first 2 shown]
	v_cndmask_b32_e32 v6, 0, v7, vcc
	v_add_u32_e32 v5, v5, v6
	v_bfe_i32 v7, v4, 4, 1
	v_cmp_lt_u32_e32 vcc, 31, v4
	v_mov_b32_dpp v6, v5 row_bcast:15 row_mask:0xf bank_mask:0xf
	v_and_b32_e32 v6, v7, v6
	v_add_u32_e32 v5, v5, v6
	v_or_b32_e32 v7, 63, v0
	s_nop 0
	v_mov_b32_dpp v6, v5 row_bcast:31 row_mask:0xf bank_mask:0xf
	v_cndmask_b32_e32 v6, 0, v6, vcc
	v_add_u32_e32 v6, v5, v6
	v_lshrrev_b32_e32 v5, 6, v0
	v_cmp_eq_u32_e32 vcc, v7, v0
	v_lshlrev_b32_e32 v7, 2, v5
	s_and_saveexec_b64 s[0:1], vcc
	s_cbranch_execz .LBB23_8
; %bb.7:
	ds_write_b32 v7, v6 offset:4096
.LBB23_8:
	s_or_b64 exec, exec, s[0:1]
	v_cmp_gt_u32_e32 vcc, 2, v0
	v_lshlrev_b32_e32 v5, 2, v0
	s_waitcnt lgkmcnt(0)
	s_barrier
	s_and_saveexec_b64 s[0:1], vcc
	s_cbranch_execz .LBB23_10
; %bb.9:
	ds_read_b32 v8, v5 offset:4096
	v_bfe_i32 v9, v4, 0, 1
	s_waitcnt lgkmcnt(0)
	v_mov_b32_dpp v10, v8 row_shr:1 row_mask:0xf bank_mask:0xf
	v_and_b32_e32 v9, v9, v10
	v_add_u32_e32 v8, v9, v8
	ds_write_b32 v5, v8 offset:4096
.LBB23_10:
	s_or_b64 exec, exec, s[0:1]
	v_cmp_lt_u32_e32 vcc, 63, v0
	v_mov_b32_e32 v0, 0
	v_mov_b32_e32 v8, 0
	s_waitcnt lgkmcnt(0)
	s_barrier
	s_and_saveexec_b64 s[0:1], vcc
	s_cbranch_execz .LBB23_12
; %bb.11:
	ds_read_b32 v8, v7 offset:4092
.LBB23_12:
	s_or_b64 exec, exec, s[0:1]
	v_add_u32_e32 v7, -1, v4
	v_and_b32_e32 v9, 64, v4
	v_cmp_lt_i32_e32 vcc, v7, v9
	v_cndmask_b32_e32 v7, v7, v4, vcc
	s_waitcnt lgkmcnt(0)
	v_add_u32_e32 v6, v8, v6
	v_lshlrev_b32_e32 v7, 2, v7
	ds_bpermute_b32 v6, v7, v6
	ds_read_b32 v0, v0 offset:4100
	v_cmp_eq_u32_e32 vcc, 0, v4
	s_lshl_b64 s[0:1], s[6:7], 2
	s_add_u32 s0, s2, s0
	s_waitcnt lgkmcnt(1)
	v_cndmask_b32_e32 v4, v6, v8, vcc
	ds_read2_b32 v[6:7], v3 offset1:1
	s_waitcnt lgkmcnt(1)
	v_lshl_add_u32 v0, v0, 16, v4
	ds_read2_b32 v[8:9], v3 offset0:2 offset1:3
	ds_read2_b32 v[10:11], v3 offset0:4 offset1:5
	ds_read_b32 v4, v3 offset:24
	s_addc_u32 s1, s3, s1
	s_waitcnt lgkmcnt(3)
	v_add_u32_e32 v6, v0, v6
	ds_write2_b32 v3, v0, v6 offset1:1
	v_add_u32_e32 v0, v7, v6
	s_waitcnt lgkmcnt(3)
	v_add_u32_e32 v6, v8, v0
	ds_write2_b32 v3, v0, v6 offset0:2 offset1:3
	v_add_u32_e32 v0, v9, v6
	s_waitcnt lgkmcnt(3)
	v_add_u32_e32 v6, v10, v0
	ds_write2_b32 v3, v0, v6 offset0:4 offset1:5
	;; [unrolled: 4-line block ×3, first 2 shown]
	s_waitcnt lgkmcnt(0)
	s_barrier
	ds_read_u16 v0, v1
	s_waitcnt lgkmcnt(0)
	v_add_u32_sdwa v0, v0, v2 dst_sel:DWORD dst_unused:UNUSED_PAD src0_sel:DWORD src1_sel:WORD_0
	global_store_dword v5, v0, s[0:1]
	s_endpgm
	.section	.rodata,"a",@progbits
	.p2align	6, 0x0
	.amdhsa_kernel _Z11rank_kernelILj128ELj1ELj4ELb0EL18RadixRankAlgorithm0E6__halfEvPKT4_Pijj
		.amdhsa_group_segment_fixed_size 4112
		.amdhsa_private_segment_fixed_size 0
		.amdhsa_kernarg_size 24
		.amdhsa_user_sgpr_count 6
		.amdhsa_user_sgpr_private_segment_buffer 1
		.amdhsa_user_sgpr_dispatch_ptr 0
		.amdhsa_user_sgpr_queue_ptr 0
		.amdhsa_user_sgpr_kernarg_segment_ptr 1
		.amdhsa_user_sgpr_dispatch_id 0
		.amdhsa_user_sgpr_flat_scratch_init 0
		.amdhsa_user_sgpr_kernarg_preload_length 0
		.amdhsa_user_sgpr_kernarg_preload_offset 0
		.amdhsa_user_sgpr_private_segment_size 0
		.amdhsa_uses_dynamic_stack 0
		.amdhsa_system_sgpr_private_segment_wavefront_offset 0
		.amdhsa_system_sgpr_workgroup_id_x 1
		.amdhsa_system_sgpr_workgroup_id_y 0
		.amdhsa_system_sgpr_workgroup_id_z 0
		.amdhsa_system_sgpr_workgroup_info 0
		.amdhsa_system_vgpr_workitem_id 0
		.amdhsa_next_free_vgpr 12
		.amdhsa_next_free_sgpr 16
		.amdhsa_accum_offset 12
		.amdhsa_reserve_vcc 1
		.amdhsa_reserve_flat_scratch 0
		.amdhsa_float_round_mode_32 0
		.amdhsa_float_round_mode_16_64 0
		.amdhsa_float_denorm_mode_32 3
		.amdhsa_float_denorm_mode_16_64 3
		.amdhsa_dx10_clamp 1
		.amdhsa_ieee_mode 1
		.amdhsa_fp16_overflow 0
		.amdhsa_tg_split 0
		.amdhsa_exception_fp_ieee_invalid_op 0
		.amdhsa_exception_fp_denorm_src 0
		.amdhsa_exception_fp_ieee_div_zero 0
		.amdhsa_exception_fp_ieee_overflow 0
		.amdhsa_exception_fp_ieee_underflow 0
		.amdhsa_exception_fp_ieee_inexact 0
		.amdhsa_exception_int_div_zero 0
	.end_amdhsa_kernel
	.section	.text._Z11rank_kernelILj128ELj1ELj4ELb0EL18RadixRankAlgorithm0E6__halfEvPKT4_Pijj,"axG",@progbits,_Z11rank_kernelILj128ELj1ELj4ELb0EL18RadixRankAlgorithm0E6__halfEvPKT4_Pijj,comdat
.Lfunc_end23:
	.size	_Z11rank_kernelILj128ELj1ELj4ELb0EL18RadixRankAlgorithm0E6__halfEvPKT4_Pijj, .Lfunc_end23-_Z11rank_kernelILj128ELj1ELj4ELb0EL18RadixRankAlgorithm0E6__halfEvPKT4_Pijj
                                        ; -- End function
	.section	.AMDGPU.csdata,"",@progbits
; Kernel info:
; codeLenInByte = 968
; NumSgprs: 20
; NumVgprs: 12
; NumAgprs: 0
; TotalNumVgprs: 12
; ScratchSize: 0
; MemoryBound: 0
; FloatMode: 240
; IeeeMode: 1
; LDSByteSize: 4112 bytes/workgroup (compile time only)
; SGPRBlocks: 2
; VGPRBlocks: 1
; NumSGPRsForWavesPerEU: 20
; NumVGPRsForWavesPerEU: 12
; AccumOffset: 12
; Occupancy: 8
; WaveLimiterHint : 0
; COMPUTE_PGM_RSRC2:SCRATCH_EN: 0
; COMPUTE_PGM_RSRC2:USER_SGPR: 6
; COMPUTE_PGM_RSRC2:TRAP_HANDLER: 0
; COMPUTE_PGM_RSRC2:TGID_X_EN: 1
; COMPUTE_PGM_RSRC2:TGID_Y_EN: 0
; COMPUTE_PGM_RSRC2:TGID_Z_EN: 0
; COMPUTE_PGM_RSRC2:TIDIG_COMP_CNT: 0
; COMPUTE_PGM_RSRC3_GFX90A:ACCUM_OFFSET: 2
; COMPUTE_PGM_RSRC3_GFX90A:TG_SPLIT: 0
	.section	.text._Z11rank_kernelILj64ELj1ELj4ELb0EL18RadixRankAlgorithm0EjEvPKT4_Pijj,"axG",@progbits,_Z11rank_kernelILj64ELj1ELj4ELb0EL18RadixRankAlgorithm0EjEvPKT4_Pijj,comdat
	.protected	_Z11rank_kernelILj64ELj1ELj4ELb0EL18RadixRankAlgorithm0EjEvPKT4_Pijj ; -- Begin function _Z11rank_kernelILj64ELj1ELj4ELb0EL18RadixRankAlgorithm0EjEvPKT4_Pijj
	.globl	_Z11rank_kernelILj64ELj1ELj4ELb0EL18RadixRankAlgorithm0EjEvPKT4_Pijj
	.p2align	8
	.type	_Z11rank_kernelILj64ELj1ELj4ELb0EL18RadixRankAlgorithm0EjEvPKT4_Pijj,@function
_Z11rank_kernelILj64ELj1ELj4ELb0EL18RadixRankAlgorithm0EjEvPKT4_Pijj: ; @_Z11rank_kernelILj64ELj1ELj4ELb0EL18RadixRankAlgorithm0EjEvPKT4_Pijj
; %bb.0:
	s_load_dwordx4 s[0:3], s[4:5], 0x0
	s_lshl_b32 s8, s6, 6
	s_mov_b32 s9, 0
	s_lshl_b64 s[6:7], s[8:9], 2
	v_lshlrev_b32_e32 v4, 2, v0
	s_waitcnt lgkmcnt(0)
	s_add_u32 s0, s0, s6
	s_addc_u32 s1, s1, s7
	global_load_dword v5, v4, s[0:1]
	s_movk_i32 s0, 0x200
	v_cmp_gt_u32_e32 vcc, s0, v0
	s_and_saveexec_b64 s[0:1], vcc
	s_cbranch_execz .LBB24_7
; %bb.1:
	v_or_b32_e32 v1, 64, v0
	s_mov_b64 s[10:11], 0
	v_mov_b32_e32 v6, 0
	v_pk_mov_b32 v[2:3], v[0:1], v[0:1] op_sel:[0,1]
	s_branch .LBB24_3
.LBB24_2:                               ;   in Loop: Header=BB24_3 Depth=1
	s_or_b64 exec, exec, s[14:15]
	s_add_i32 s9, s9, 2
	v_cmp_eq_u32_e64 s[12:13], 8, s9
	v_add_u32_e32 v3, 0x80, v3
	s_or_b64 s[10:11], s[12:13], s[10:11]
	v_add_u32_e32 v2, 0x80, v2
	s_andn2_b64 exec, exec, s[10:11]
	s_cbranch_execz .LBB24_7
.LBB24_3:                               ; =>This Inner Loop Header: Depth=1
	s_or_b32 s8, s9, 1
	v_cmp_le_u32_e64 s[12:13], s8, 7
	v_cmp_le_u32_e64 s[16:17], s9, 7
	s_and_saveexec_b64 s[14:15], s[16:17]
	s_cbranch_execz .LBB24_5
; %bb.4:                                ;   in Loop: Header=BB24_3 Depth=1
	v_lshlrev_b32_e32 v1, 2, v2
	ds_write_b32 v1, v6
.LBB24_5:                               ;   in Loop: Header=BB24_3 Depth=1
	s_or_b64 exec, exec, s[14:15]
	s_and_saveexec_b64 s[14:15], s[12:13]
	s_cbranch_execz .LBB24_2
; %bb.6:                                ;   in Loop: Header=BB24_3 Depth=1
	v_lshlrev_b32_e32 v1, 2, v3
	ds_write_b32 v1, v6
	s_branch .LBB24_2
.LBB24_7:
	s_or_b64 exec, exec, s[0:1]
	s_load_dwordx2 s[0:1], s[4:5], 0x10
	s_waitcnt lgkmcnt(0)
	s_and_b32 s1, s1, 31
	s_and_b32 s0, s0, 31
	s_add_i32 s0, s0, s1
	s_sub_i32 s4, 32, s1
	s_sub_i32 s0, 32, s0
	s_waitcnt vmcnt(0)
	v_lshlrev_b32_e32 v1, s0, v5
	s_cmp_lg_u32 s1, 0
	v_lshrrev_b32_e32 v1, s4, v1
	s_cselect_b64 vcc, -1, 0
	v_cndmask_b32_e32 v1, 0, v1, vcc
	v_lshrrev_b32_e32 v2, 3, v1
	v_lshlrev_b32_e32 v1, 6, v1
	s_movk_i32 s0, 0x1c0
	v_and_or_b32 v1, v1, s0, v0
	v_lshlrev_b32_e32 v1, 1, v1
	v_add_lshl_u32 v1, v1, v2, 1
	ds_read_u16 v2, v1
	s_waitcnt lgkmcnt(0)
	v_add_u16_e32 v3, 1, v2
	ds_write_b16 v1, v3
	v_lshlrev_b32_e32 v3, 5, v0
	s_waitcnt lgkmcnt(0)
	; wave barrier
	s_waitcnt lgkmcnt(0)
	ds_read2_b32 v[6:7], v3 offset1:1
	ds_read2_b32 v[8:9], v3 offset0:2 offset1:3
	ds_read2_b32 v[10:11], v3 offset0:4 offset1:5
	;; [unrolled: 1-line block ×3, first 2 shown]
	s_waitcnt lgkmcnt(3)
	v_add_u32_e32 v5, v7, v6
	s_waitcnt lgkmcnt(2)
	v_add3_u32 v5, v5, v8, v9
	s_waitcnt lgkmcnt(1)
	v_add3_u32 v5, v5, v10, v11
	;; [unrolled: 2-line block ×3, first 2 shown]
	v_mbcnt_lo_u32_b32 v5, -1, 0
	v_mbcnt_hi_u32_b32 v5, -1, v5
	v_and_b32_e32 v7, 15, v5
	v_mov_b32_dpp v8, v6 row_shr:1 row_mask:0xf bank_mask:0xf
	v_cmp_ne_u32_e32 vcc, 0, v7
	v_cndmask_b32_e32 v8, 0, v8, vcc
	v_add_u32_e32 v6, v8, v6
	v_cmp_lt_u32_e32 vcc, 1, v7
	s_nop 0
	v_mov_b32_dpp v8, v6 row_shr:2 row_mask:0xf bank_mask:0xf
	v_cndmask_b32_e32 v8, 0, v8, vcc
	v_add_u32_e32 v6, v6, v8
	v_cmp_lt_u32_e32 vcc, 3, v7
	s_nop 0
	v_mov_b32_dpp v8, v6 row_shr:4 row_mask:0xf bank_mask:0xf
	;; [unrolled: 5-line block ×3, first 2 shown]
	v_cndmask_b32_e32 v7, 0, v8, vcc
	v_add_u32_e32 v6, v6, v7
	v_bfe_i32 v8, v5, 4, 1
	v_cmp_lt_u32_e32 vcc, 31, v5
	v_mov_b32_dpp v7, v6 row_bcast:15 row_mask:0xf bank_mask:0xf
	v_and_b32_e32 v7, v8, v7
	v_add_u32_e32 v6, v6, v7
	s_nop 1
	v_mov_b32_dpp v7, v6 row_bcast:31 row_mask:0xf bank_mask:0xf
	v_cndmask_b32_e32 v7, 0, v7, vcc
	v_add_u32_e32 v6, v6, v7
	v_cmp_eq_u32_e32 vcc, 63, v0
	s_and_saveexec_b64 s[0:1], vcc
	s_cbranch_execz .LBB24_9
; %bb.8:
	v_mov_b32_e32 v0, 0
	ds_write_b32 v0, v6 offset:2048
.LBB24_9:
	s_or_b64 exec, exec, s[0:1]
	v_add_u32_e32 v0, -1, v5
	v_and_b32_e32 v7, 64, v5
	v_cmp_lt_i32_e32 vcc, v0, v7
	v_cndmask_b32_e32 v0, v0, v5, vcc
	v_lshlrev_b32_e32 v0, 2, v0
	ds_bpermute_b32 v0, v0, v6
	v_mov_b32_e32 v6, 0
	s_waitcnt lgkmcnt(0)
	; wave barrier
	s_waitcnt lgkmcnt(0)
	ds_read_b32 v8, v6 offset:2048
	ds_read2_b32 v[6:7], v3 offset1:1
	v_cmp_ne_u32_e32 vcc, 0, v5
	v_cndmask_b32_e32 v0, 0, v0, vcc
	s_add_u32 s0, s2, s6
	s_waitcnt lgkmcnt(1)
	v_lshl_add_u32 v0, v8, 16, v0
	ds_read2_b32 v[8:9], v3 offset0:2 offset1:3
	ds_read2_b32 v[10:11], v3 offset0:4 offset1:5
	ds_read_b32 v5, v3 offset:24
	s_waitcnt lgkmcnt(3)
	v_add_u32_e32 v6, v0, v6
	ds_write2_b32 v3, v0, v6 offset1:1
	v_add_u32_e32 v0, v7, v6
	s_waitcnt lgkmcnt(3)
	v_add_u32_e32 v6, v8, v0
	ds_write2_b32 v3, v0, v6 offset0:2 offset1:3
	v_add_u32_e32 v0, v9, v6
	s_waitcnt lgkmcnt(3)
	v_add_u32_e32 v6, v10, v0
	ds_write2_b32 v3, v0, v6 offset0:4 offset1:5
	;; [unrolled: 4-line block ×3, first 2 shown]
	s_waitcnt lgkmcnt(0)
	; wave barrier
	s_waitcnt lgkmcnt(0)
	ds_read_u16 v0, v1
	s_addc_u32 s1, s3, s7
	s_waitcnt lgkmcnt(0)
	v_add_u32_sdwa v0, v0, v2 dst_sel:DWORD dst_unused:UNUSED_PAD src0_sel:DWORD src1_sel:WORD_0
	global_store_dword v4, v0, s[0:1]
	s_endpgm
	.section	.rodata,"a",@progbits
	.p2align	6, 0x0
	.amdhsa_kernel _Z11rank_kernelILj64ELj1ELj4ELb0EL18RadixRankAlgorithm0EjEvPKT4_Pijj
		.amdhsa_group_segment_fixed_size 2064
		.amdhsa_private_segment_fixed_size 0
		.amdhsa_kernarg_size 24
		.amdhsa_user_sgpr_count 6
		.amdhsa_user_sgpr_private_segment_buffer 1
		.amdhsa_user_sgpr_dispatch_ptr 0
		.amdhsa_user_sgpr_queue_ptr 0
		.amdhsa_user_sgpr_kernarg_segment_ptr 1
		.amdhsa_user_sgpr_dispatch_id 0
		.amdhsa_user_sgpr_flat_scratch_init 0
		.amdhsa_user_sgpr_kernarg_preload_length 0
		.amdhsa_user_sgpr_kernarg_preload_offset 0
		.amdhsa_user_sgpr_private_segment_size 0
		.amdhsa_uses_dynamic_stack 0
		.amdhsa_system_sgpr_private_segment_wavefront_offset 0
		.amdhsa_system_sgpr_workgroup_id_x 1
		.amdhsa_system_sgpr_workgroup_id_y 0
		.amdhsa_system_sgpr_workgroup_id_z 0
		.amdhsa_system_sgpr_workgroup_info 0
		.amdhsa_system_vgpr_workitem_id 0
		.amdhsa_next_free_vgpr 14
		.amdhsa_next_free_sgpr 18
		.amdhsa_accum_offset 16
		.amdhsa_reserve_vcc 1
		.amdhsa_reserve_flat_scratch 0
		.amdhsa_float_round_mode_32 0
		.amdhsa_float_round_mode_16_64 0
		.amdhsa_float_denorm_mode_32 3
		.amdhsa_float_denorm_mode_16_64 3
		.amdhsa_dx10_clamp 1
		.amdhsa_ieee_mode 1
		.amdhsa_fp16_overflow 0
		.amdhsa_tg_split 0
		.amdhsa_exception_fp_ieee_invalid_op 0
		.amdhsa_exception_fp_denorm_src 0
		.amdhsa_exception_fp_ieee_div_zero 0
		.amdhsa_exception_fp_ieee_overflow 0
		.amdhsa_exception_fp_ieee_underflow 0
		.amdhsa_exception_fp_ieee_inexact 0
		.amdhsa_exception_int_div_zero 0
	.end_amdhsa_kernel
	.section	.text._Z11rank_kernelILj64ELj1ELj4ELb0EL18RadixRankAlgorithm0EjEvPKT4_Pijj,"axG",@progbits,_Z11rank_kernelILj64ELj1ELj4ELb0EL18RadixRankAlgorithm0EjEvPKT4_Pijj,comdat
.Lfunc_end24:
	.size	_Z11rank_kernelILj64ELj1ELj4ELb0EL18RadixRankAlgorithm0EjEvPKT4_Pijj, .Lfunc_end24-_Z11rank_kernelILj64ELj1ELj4ELb0EL18RadixRankAlgorithm0EjEvPKT4_Pijj
                                        ; -- End function
	.section	.AMDGPU.csdata,"",@progbits
; Kernel info:
; codeLenInByte = 812
; NumSgprs: 22
; NumVgprs: 14
; NumAgprs: 0
; TotalNumVgprs: 14
; ScratchSize: 0
; MemoryBound: 0
; FloatMode: 240
; IeeeMode: 1
; LDSByteSize: 2064 bytes/workgroup (compile time only)
; SGPRBlocks: 2
; VGPRBlocks: 1
; NumSGPRsForWavesPerEU: 22
; NumVGPRsForWavesPerEU: 14
; AccumOffset: 16
; Occupancy: 8
; WaveLimiterHint : 0
; COMPUTE_PGM_RSRC2:SCRATCH_EN: 0
; COMPUTE_PGM_RSRC2:USER_SGPR: 6
; COMPUTE_PGM_RSRC2:TRAP_HANDLER: 0
; COMPUTE_PGM_RSRC2:TGID_X_EN: 1
; COMPUTE_PGM_RSRC2:TGID_Y_EN: 0
; COMPUTE_PGM_RSRC2:TGID_Z_EN: 0
; COMPUTE_PGM_RSRC2:TIDIG_COMP_CNT: 0
; COMPUTE_PGM_RSRC3_GFX90A:ACCUM_OFFSET: 3
; COMPUTE_PGM_RSRC3_GFX90A:TG_SPLIT: 0
	.section	.text._Z11rank_kernelILj193ELj2ELj4ELb1EL18RadixRankAlgorithm1E12hip_bfloat16EvPKT4_Pijj,"axG",@progbits,_Z11rank_kernelILj193ELj2ELj4ELb1EL18RadixRankAlgorithm1E12hip_bfloat16EvPKT4_Pijj,comdat
	.protected	_Z11rank_kernelILj193ELj2ELj4ELb1EL18RadixRankAlgorithm1E12hip_bfloat16EvPKT4_Pijj ; -- Begin function _Z11rank_kernelILj193ELj2ELj4ELb1EL18RadixRankAlgorithm1E12hip_bfloat16EvPKT4_Pijj
	.globl	_Z11rank_kernelILj193ELj2ELj4ELb1EL18RadixRankAlgorithm1E12hip_bfloat16EvPKT4_Pijj
	.p2align	8
	.type	_Z11rank_kernelILj193ELj2ELj4ELb1EL18RadixRankAlgorithm1E12hip_bfloat16EvPKT4_Pijj,@function
_Z11rank_kernelILj193ELj2ELj4ELb1EL18RadixRankAlgorithm1E12hip_bfloat16EvPKT4_Pijj: ; @_Z11rank_kernelILj193ELj2ELj4ELb1EL18RadixRankAlgorithm1E12hip_bfloat16EvPKT4_Pijj
; %bb.0:
	s_load_dwordx4 s[0:3], s[4:5], 0x0
	s_mulk_i32 s6, 0x182
	s_mov_b32 s7, 0
	s_lshl_b64 s[8:9], s[6:7], 1
	v_lshlrev_b32_e32 v12, 2, v0
	s_waitcnt lgkmcnt(0)
	s_add_u32 s0, s0, s8
	s_addc_u32 s1, s1, s9
	global_load_dword v5, v12, s[0:1]
	v_sub_u32_e32 v1, 0x546, v0
	s_mov_b32 s0, 0x1539095
	v_mul_hi_u32 v1, v1, s0
	v_add_u32_e32 v3, 3, v1
	v_add_u32_e32 v4, 1, v1
	v_add_u32_e32 v1, 0xc1, v0
	v_lshlrev_b32_e32 v2, 1, v0
	v_mov_b32_e32 v8, 0
	v_and_b32_e32 v9, 14, v3
	v_mov_b32_e32 v3, v4
	s_mov_b64 s[8:9], 0
	s_mov_b32 s12, s7
	v_pk_mov_b32 v[6:7], v[0:1], v[0:1] op_sel:[0,1]
	s_branch .LBB25_2
.LBB25_1:                               ;   in Loop: Header=BB25_2 Depth=1
	s_or_b64 exec, exec, s[0:1]
	s_add_i32 s12, s12, 2
	v_cmp_eq_u32_e32 vcc, s12, v9
	v_add_u32_e32 v7, 0x182, v7
	s_or_b64 s[8:9], vcc, s[8:9]
	v_add_u32_e32 v6, 0x182, v6
	s_andn2_b64 exec, exec, s[8:9]
	s_cbranch_execz .LBB25_6
.LBB25_2:                               ; =>This Inner Loop Header: Depth=1
	s_or_b32 s0, s12, 1
	v_cmp_le_u32_e32 vcc, s0, v3
	v_cmp_le_u32_e64 s[0:1], s12, v4
	s_and_saveexec_b64 s[10:11], s[0:1]
	s_cbranch_execz .LBB25_4
; %bb.3:                                ;   in Loop: Header=BB25_2 Depth=1
	v_lshlrev_b32_e32 v1, 2, v6
	ds_write_b32 v1, v8
.LBB25_4:                               ;   in Loop: Header=BB25_2 Depth=1
	s_or_b64 exec, exec, s[10:11]
	s_and_saveexec_b64 s[0:1], vcc
	s_cbranch_execz .LBB25_1
; %bb.5:                                ;   in Loop: Header=BB25_2 Depth=1
	v_lshlrev_b32_e32 v1, 2, v7
	ds_write_b32 v1, v8
	s_branch .LBB25_1
.LBB25_6:
	s_or_b64 exec, exec, s[8:9]
	s_load_dwordx2 s[0:1], s[4:5], 0x10
	v_mov_b32_e32 v4, 0xffff8000
	s_waitcnt vmcnt(0)
	v_cmp_lt_i16_e32 vcc, -1, v5
	v_cndmask_b32_e32 v1, -1, v4, vcc
	v_xor_b32_e32 v1, v1, v5
	s_waitcnt lgkmcnt(0)
	s_and_b32 s1, s1, 31
	s_cmp_eq_u32 s1, 0
	s_cselect_b64 s[4:5], -1, 0
	s_and_b32 s0, s0, 31
	s_movk_i32 s8, 0x7fff
	s_add_i32 s0, s0, s1
	v_cmp_ne_u16_e32 vcc, s8, v1
	s_sub_i32 s0, 32, s0
	v_cndmask_b32_e32 v1, v4, v1, vcc
	s_sub_i32 s1, 32, s1
	v_lshlrev_b32_sdwa v1, s0, v1 dst_sel:DWORD dst_unused:UNUSED_PAD src0_sel:DWORD src1_sel:WORD_0
	v_bfe_u32 v1, v1, s1, 16
	v_mov_b32_e32 v6, -1
	v_xor_b32_e32 v1, 15, v1
	v_cmp_gt_i16_sdwa vcc, v5, v6 src0_sel:WORD_1 src1_sel:DWORD
	v_cndmask_b32_e64 v1, v1, 15, s[4:5]
	v_cndmask_b32_e32 v6, -1, v4, vcc
	v_and_b32_e32 v3, 7, v1
	v_xor_b32_sdwa v5, v6, v5 dst_sel:DWORD dst_unused:UNUSED_PAD src0_sel:DWORD src1_sel:WORD_1
	v_mul_u32_u24_e32 v3, 0xc1, v3
	v_cmp_ne_u16_e32 vcc, s8, v5
	v_lshrrev_b32_e32 v1, 3, v1
	v_add_lshl_u32 v3, v3, v0, 1
	v_cndmask_b32_e32 v4, v4, v5, vcc
	v_add_lshl_u32 v3, v3, v1, 1
	v_lshlrev_b32_sdwa v4, s0, v4 dst_sel:DWORD dst_unused:UNUSED_PAD src0_sel:DWORD src1_sel:WORD_0
	ds_read_u16 v1, v3
	v_bfe_u32 v4, v4, s1, 16
	v_xor_b32_e32 v4, 15, v4
	v_cndmask_b32_e64 v4, v4, 15, s[4:5]
	v_and_b32_e32 v5, 7, v4
	v_mul_u32_u24_e32 v5, 0xc1, v5
	s_waitcnt lgkmcnt(0)
	v_add_u16_e32 v6, 1, v1
	v_lshrrev_b32_e32 v4, 3, v4
	v_add_lshl_u32 v5, v5, v0, 1
	ds_write_b16 v3, v6
	v_add_lshl_u32 v14, v5, v4, 1
	ds_read_u16 v13, v14
	v_lshlrev_b32_e32 v15, 5, v0
	s_waitcnt lgkmcnt(0)
	v_add_u16_e32 v4, 1, v13
	ds_write_b16 v14, v4
	s_waitcnt lgkmcnt(0)
	s_barrier
	ds_read2_b32 v[10:11], v15 offset1:1
	ds_read2_b32 v[8:9], v15 offset0:2 offset1:3
	ds_read2_b32 v[4:5], v15 offset0:4 offset1:5
	;; [unrolled: 1-line block ×3, first 2 shown]
	s_waitcnt lgkmcnt(3)
	v_add_u32_e32 v16, v11, v10
	s_waitcnt lgkmcnt(2)
	v_add3_u32 v16, v16, v8, v9
	s_waitcnt lgkmcnt(1)
	v_add3_u32 v16, v16, v4, v5
	;; [unrolled: 2-line block ×3, first 2 shown]
	v_mbcnt_lo_u32_b32 v7, -1, 0
	v_mbcnt_hi_u32_b32 v7, -1, v7
	v_and_b32_e32 v17, 15, v7
	v_mov_b32_dpp v18, v16 row_shr:1 row_mask:0xf bank_mask:0xf
	v_cmp_ne_u32_e32 vcc, 0, v17
	v_cndmask_b32_e32 v18, 0, v18, vcc
	v_add_u32_e32 v16, v18, v16
	v_cmp_lt_u32_e32 vcc, 1, v17
	s_nop 0
	v_mov_b32_dpp v18, v16 row_shr:2 row_mask:0xf bank_mask:0xf
	v_cndmask_b32_e32 v18, 0, v18, vcc
	v_add_u32_e32 v16, v16, v18
	v_cmp_lt_u32_e32 vcc, 3, v17
	s_nop 0
	v_mov_b32_dpp v18, v16 row_shr:4 row_mask:0xf bank_mask:0xf
	;; [unrolled: 5-line block ×3, first 2 shown]
	v_cndmask_b32_e32 v17, 0, v18, vcc
	v_add_u32_e32 v16, v16, v17
	v_bfe_i32 v18, v7, 4, 1
	v_cmp_lt_u32_e32 vcc, 31, v7
	v_mov_b32_dpp v17, v16 row_bcast:15 row_mask:0xf bank_mask:0xf
	v_and_b32_e32 v17, v18, v17
	v_add_u32_e32 v16, v16, v17
	v_and_b32_e32 v18, 0xc0, v0
	v_min_u32_e32 v18, 0x81, v18
	v_mov_b32_dpp v17, v16 row_bcast:31 row_mask:0xf bank_mask:0xf
	v_cndmask_b32_e32 v17, 0, v17, vcc
	v_add_u32_e32 v16, v16, v17
	v_lshrrev_b32_e32 v17, 6, v0
	v_add_u32_e32 v18, 63, v18
	v_cmp_eq_u32_e32 vcc, v18, v0
	v_lshlrev_b32_e32 v17, 2, v17
	s_and_saveexec_b64 s[0:1], vcc
	s_cbranch_execz .LBB25_8
; %bb.7:
	ds_write_b32 v17, v16 offset:6176
.LBB25_8:
	s_or_b64 exec, exec, s[0:1]
	v_cmp_gt_u32_e32 vcc, 4, v0
	s_waitcnt lgkmcnt(0)
	s_barrier
	s_and_saveexec_b64 s[0:1], vcc
	s_cbranch_execz .LBB25_10
; %bb.9:
	ds_read_b32 v18, v12 offset:6176
	v_and_b32_e32 v19, 3, v7
	v_cmp_ne_u32_e32 vcc, 0, v19
	s_waitcnt lgkmcnt(0)
	v_mov_b32_dpp v20, v18 row_shr:1 row_mask:0xf bank_mask:0xf
	v_cndmask_b32_e32 v20, 0, v20, vcc
	v_add_u32_e32 v18, v20, v18
	v_cmp_lt_u32_e32 vcc, 1, v19
	s_nop 0
	v_mov_b32_dpp v20, v18 row_shr:2 row_mask:0xf bank_mask:0xf
	v_cndmask_b32_e32 v19, 0, v20, vcc
	v_add_u32_e32 v18, v18, v19
	ds_write_b32 v12, v18 offset:6176
.LBB25_10:
	s_or_b64 exec, exec, s[0:1]
	v_cmp_lt_u32_e32 vcc, 63, v0
	v_mov_b32_e32 v0, 0
	v_mov_b32_e32 v12, 0
	s_waitcnt lgkmcnt(0)
	s_barrier
	s_and_saveexec_b64 s[0:1], vcc
	s_cbranch_execz .LBB25_12
; %bb.11:
	ds_read_b32 v12, v17 offset:6172
.LBB25_12:
	s_or_b64 exec, exec, s[0:1]
	v_add_u32_e32 v17, -1, v7
	v_and_b32_e32 v18, 64, v7
	v_cmp_lt_i32_e32 vcc, v17, v18
	v_cndmask_b32_e32 v17, v17, v7, vcc
	s_waitcnt lgkmcnt(0)
	v_add_u32_e32 v16, v12, v16
	v_lshlrev_b32_e32 v17, 2, v17
	ds_bpermute_b32 v16, v17, v16
	ds_read_b32 v0, v0 offset:6188
	v_cmp_eq_u32_e32 vcc, 0, v7
	s_lshl_b64 s[0:1], s[6:7], 2
	s_add_u32 s0, s2, s0
	s_waitcnt lgkmcnt(1)
	v_cndmask_b32_e32 v7, v16, v12, vcc
	s_waitcnt lgkmcnt(0)
	v_lshl_add_u32 v0, v0, 16, v7
	v_add_u32_e32 v7, v0, v10
	v_add_u32_e32 v10, v7, v11
	;; [unrolled: 1-line block ×7, first 2 shown]
	ds_write2_b32 v15, v0, v7 offset1:1
	ds_write2_b32 v15, v10, v8 offset0:2 offset1:3
	ds_write2_b32 v15, v9, v4 offset0:4 offset1:5
	;; [unrolled: 1-line block ×3, first 2 shown]
	s_waitcnt lgkmcnt(0)
	s_barrier
	ds_read_u16 v0, v3
	ds_read_u16 v3, v14
	s_addc_u32 s1, s3, s1
	v_lshlrev_b32_e32 v2, 2, v2
	s_waitcnt lgkmcnt(1)
	v_add_u32_sdwa v0, v0, v1 dst_sel:DWORD dst_unused:UNUSED_PAD src0_sel:DWORD src1_sel:WORD_0
	s_waitcnt lgkmcnt(0)
	v_add_u32_sdwa v1, v3, v13 dst_sel:DWORD dst_unused:UNUSED_PAD src0_sel:DWORD src1_sel:WORD_0
	global_store_dwordx2 v2, v[0:1], s[0:1]
	s_endpgm
	.section	.rodata,"a",@progbits
	.p2align	6, 0x0
	.amdhsa_kernel _Z11rank_kernelILj193ELj2ELj4ELb1EL18RadixRankAlgorithm1E12hip_bfloat16EvPKT4_Pijj
		.amdhsa_group_segment_fixed_size 6192
		.amdhsa_private_segment_fixed_size 0
		.amdhsa_kernarg_size 24
		.amdhsa_user_sgpr_count 6
		.amdhsa_user_sgpr_private_segment_buffer 1
		.amdhsa_user_sgpr_dispatch_ptr 0
		.amdhsa_user_sgpr_queue_ptr 0
		.amdhsa_user_sgpr_kernarg_segment_ptr 1
		.amdhsa_user_sgpr_dispatch_id 0
		.amdhsa_user_sgpr_flat_scratch_init 0
		.amdhsa_user_sgpr_kernarg_preload_length 0
		.amdhsa_user_sgpr_kernarg_preload_offset 0
		.amdhsa_user_sgpr_private_segment_size 0
		.amdhsa_uses_dynamic_stack 0
		.amdhsa_system_sgpr_private_segment_wavefront_offset 0
		.amdhsa_system_sgpr_workgroup_id_x 1
		.amdhsa_system_sgpr_workgroup_id_y 0
		.amdhsa_system_sgpr_workgroup_id_z 0
		.amdhsa_system_sgpr_workgroup_info 0
		.amdhsa_system_vgpr_workitem_id 0
		.amdhsa_next_free_vgpr 21
		.amdhsa_next_free_sgpr 13
		.amdhsa_accum_offset 24
		.amdhsa_reserve_vcc 1
		.amdhsa_reserve_flat_scratch 0
		.amdhsa_float_round_mode_32 0
		.amdhsa_float_round_mode_16_64 0
		.amdhsa_float_denorm_mode_32 3
		.amdhsa_float_denorm_mode_16_64 3
		.amdhsa_dx10_clamp 1
		.amdhsa_ieee_mode 1
		.amdhsa_fp16_overflow 0
		.amdhsa_tg_split 0
		.amdhsa_exception_fp_ieee_invalid_op 0
		.amdhsa_exception_fp_denorm_src 0
		.amdhsa_exception_fp_ieee_div_zero 0
		.amdhsa_exception_fp_ieee_overflow 0
		.amdhsa_exception_fp_ieee_underflow 0
		.amdhsa_exception_fp_ieee_inexact 0
		.amdhsa_exception_int_div_zero 0
	.end_amdhsa_kernel
	.section	.text._Z11rank_kernelILj193ELj2ELj4ELb1EL18RadixRankAlgorithm1E12hip_bfloat16EvPKT4_Pijj,"axG",@progbits,_Z11rank_kernelILj193ELj2ELj4ELb1EL18RadixRankAlgorithm1E12hip_bfloat16EvPKT4_Pijj,comdat
.Lfunc_end25:
	.size	_Z11rank_kernelILj193ELj2ELj4ELb1EL18RadixRankAlgorithm1E12hip_bfloat16EvPKT4_Pijj, .Lfunc_end25-_Z11rank_kernelILj193ELj2ELj4ELb1EL18RadixRankAlgorithm1E12hip_bfloat16EvPKT4_Pijj
                                        ; -- End function
	.section	.AMDGPU.csdata,"",@progbits
; Kernel info:
; codeLenInByte = 1136
; NumSgprs: 17
; NumVgprs: 21
; NumAgprs: 0
; TotalNumVgprs: 21
; ScratchSize: 0
; MemoryBound: 0
; FloatMode: 240
; IeeeMode: 1
; LDSByteSize: 6192 bytes/workgroup (compile time only)
; SGPRBlocks: 2
; VGPRBlocks: 2
; NumSGPRsForWavesPerEU: 17
; NumVGPRsForWavesPerEU: 21
; AccumOffset: 24
; Occupancy: 8
; WaveLimiterHint : 0
; COMPUTE_PGM_RSRC2:SCRATCH_EN: 0
; COMPUTE_PGM_RSRC2:USER_SGPR: 6
; COMPUTE_PGM_RSRC2:TRAP_HANDLER: 0
; COMPUTE_PGM_RSRC2:TGID_X_EN: 1
; COMPUTE_PGM_RSRC2:TGID_Y_EN: 0
; COMPUTE_PGM_RSRC2:TGID_Z_EN: 0
; COMPUTE_PGM_RSRC2:TIDIG_COMP_CNT: 0
; COMPUTE_PGM_RSRC3_GFX90A:ACCUM_OFFSET: 5
; COMPUTE_PGM_RSRC3_GFX90A:TG_SPLIT: 0
	.section	.text._Z11rank_kernelILj193ELj2ELj4ELb1EL18RadixRankAlgorithm1E6__halfEvPKT4_Pijj,"axG",@progbits,_Z11rank_kernelILj193ELj2ELj4ELb1EL18RadixRankAlgorithm1E6__halfEvPKT4_Pijj,comdat
	.protected	_Z11rank_kernelILj193ELj2ELj4ELb1EL18RadixRankAlgorithm1E6__halfEvPKT4_Pijj ; -- Begin function _Z11rank_kernelILj193ELj2ELj4ELb1EL18RadixRankAlgorithm1E6__halfEvPKT4_Pijj
	.globl	_Z11rank_kernelILj193ELj2ELj4ELb1EL18RadixRankAlgorithm1E6__halfEvPKT4_Pijj
	.p2align	8
	.type	_Z11rank_kernelILj193ELj2ELj4ELb1EL18RadixRankAlgorithm1E6__halfEvPKT4_Pijj,@function
_Z11rank_kernelILj193ELj2ELj4ELb1EL18RadixRankAlgorithm1E6__halfEvPKT4_Pijj: ; @_Z11rank_kernelILj193ELj2ELj4ELb1EL18RadixRankAlgorithm1E6__halfEvPKT4_Pijj
; %bb.0:
	s_load_dwordx4 s[0:3], s[4:5], 0x0
	s_mulk_i32 s6, 0x182
	s_mov_b32 s7, 0
	s_lshl_b64 s[8:9], s[6:7], 1
	v_lshlrev_b32_e32 v12, 2, v0
	s_waitcnt lgkmcnt(0)
	s_add_u32 s0, s0, s8
	s_addc_u32 s1, s1, s9
	global_load_dword v5, v12, s[0:1]
	v_sub_u32_e32 v1, 0x546, v0
	s_mov_b32 s0, 0x1539095
	v_mul_hi_u32 v1, v1, s0
	v_add_u32_e32 v3, 3, v1
	v_add_u32_e32 v4, 1, v1
	;; [unrolled: 1-line block ×3, first 2 shown]
	v_lshlrev_b32_e32 v2, 1, v0
	v_mov_b32_e32 v8, 0
	v_and_b32_e32 v9, 14, v3
	v_mov_b32_e32 v3, v4
	s_mov_b64 s[8:9], 0
	s_mov_b32 s12, s7
	v_pk_mov_b32 v[6:7], v[0:1], v[0:1] op_sel:[0,1]
	s_branch .LBB26_2
.LBB26_1:                               ;   in Loop: Header=BB26_2 Depth=1
	s_or_b64 exec, exec, s[0:1]
	s_add_i32 s12, s12, 2
	v_cmp_eq_u32_e32 vcc, s12, v9
	v_add_u32_e32 v7, 0x182, v7
	s_or_b64 s[8:9], vcc, s[8:9]
	v_add_u32_e32 v6, 0x182, v6
	s_andn2_b64 exec, exec, s[8:9]
	s_cbranch_execz .LBB26_6
.LBB26_2:                               ; =>This Inner Loop Header: Depth=1
	s_or_b32 s0, s12, 1
	v_cmp_le_u32_e32 vcc, s0, v3
	v_cmp_le_u32_e64 s[0:1], s12, v4
	s_and_saveexec_b64 s[10:11], s[0:1]
	s_cbranch_execz .LBB26_4
; %bb.3:                                ;   in Loop: Header=BB26_2 Depth=1
	v_lshlrev_b32_e32 v1, 2, v6
	ds_write_b32 v1, v8
.LBB26_4:                               ;   in Loop: Header=BB26_2 Depth=1
	s_or_b64 exec, exec, s[10:11]
	s_and_saveexec_b64 s[0:1], vcc
	s_cbranch_execz .LBB26_1
; %bb.5:                                ;   in Loop: Header=BB26_2 Depth=1
	v_lshlrev_b32_e32 v1, 2, v7
	ds_write_b32 v1, v8
	s_branch .LBB26_1
.LBB26_6:
	s_or_b64 exec, exec, s[8:9]
	s_load_dwordx2 s[0:1], s[4:5], 0x10
	v_mov_b32_e32 v4, 0xffff8000
	s_waitcnt vmcnt(0)
	v_cmp_lt_i16_e32 vcc, -1, v5
	v_cndmask_b32_e32 v1, -1, v4, vcc
	v_xor_b32_e32 v1, v1, v5
	s_waitcnt lgkmcnt(0)
	s_and_b32 s1, s1, 31
	s_cmp_eq_u32 s1, 0
	s_cselect_b64 s[4:5], -1, 0
	s_and_b32 s0, s0, 31
	s_movk_i32 s8, 0x7fff
	s_add_i32 s0, s0, s1
	v_cmp_ne_u16_e32 vcc, s8, v1
	s_sub_i32 s0, 32, s0
	v_cndmask_b32_e32 v1, v4, v1, vcc
	s_sub_i32 s1, 32, s1
	v_lshlrev_b32_sdwa v1, s0, v1 dst_sel:DWORD dst_unused:UNUSED_PAD src0_sel:DWORD src1_sel:WORD_0
	v_bfe_u32 v1, v1, s1, 16
	v_mov_b32_e32 v6, -1
	v_xor_b32_e32 v1, 15, v1
	v_cmp_gt_i16_sdwa vcc, v5, v6 src0_sel:WORD_1 src1_sel:DWORD
	v_cndmask_b32_e64 v1, v1, 15, s[4:5]
	v_cndmask_b32_e32 v6, -1, v4, vcc
	v_and_b32_e32 v3, 7, v1
	v_xor_b32_sdwa v5, v6, v5 dst_sel:DWORD dst_unused:UNUSED_PAD src0_sel:DWORD src1_sel:WORD_1
	v_mul_u32_u24_e32 v3, 0xc1, v3
	v_cmp_ne_u16_e32 vcc, s8, v5
	v_lshrrev_b32_e32 v1, 3, v1
	v_add_lshl_u32 v3, v3, v0, 1
	v_cndmask_b32_e32 v4, v4, v5, vcc
	v_add_lshl_u32 v3, v3, v1, 1
	v_lshlrev_b32_sdwa v4, s0, v4 dst_sel:DWORD dst_unused:UNUSED_PAD src0_sel:DWORD src1_sel:WORD_0
	ds_read_u16 v1, v3
	v_bfe_u32 v4, v4, s1, 16
	v_xor_b32_e32 v4, 15, v4
	v_cndmask_b32_e64 v4, v4, 15, s[4:5]
	v_and_b32_e32 v5, 7, v4
	v_mul_u32_u24_e32 v5, 0xc1, v5
	s_waitcnt lgkmcnt(0)
	v_add_u16_e32 v6, 1, v1
	v_lshrrev_b32_e32 v4, 3, v4
	v_add_lshl_u32 v5, v5, v0, 1
	ds_write_b16 v3, v6
	v_add_lshl_u32 v14, v5, v4, 1
	ds_read_u16 v13, v14
	v_lshlrev_b32_e32 v15, 5, v0
	s_waitcnt lgkmcnt(0)
	v_add_u16_e32 v4, 1, v13
	ds_write_b16 v14, v4
	s_waitcnt lgkmcnt(0)
	s_barrier
	ds_read2_b32 v[10:11], v15 offset1:1
	ds_read2_b32 v[8:9], v15 offset0:2 offset1:3
	ds_read2_b32 v[4:5], v15 offset0:4 offset1:5
	;; [unrolled: 1-line block ×3, first 2 shown]
	s_waitcnt lgkmcnt(3)
	v_add_u32_e32 v16, v11, v10
	s_waitcnt lgkmcnt(2)
	v_add3_u32 v16, v16, v8, v9
	s_waitcnt lgkmcnt(1)
	v_add3_u32 v16, v16, v4, v5
	;; [unrolled: 2-line block ×3, first 2 shown]
	v_mbcnt_lo_u32_b32 v7, -1, 0
	v_mbcnt_hi_u32_b32 v7, -1, v7
	v_and_b32_e32 v17, 15, v7
	v_mov_b32_dpp v18, v16 row_shr:1 row_mask:0xf bank_mask:0xf
	v_cmp_ne_u32_e32 vcc, 0, v17
	v_cndmask_b32_e32 v18, 0, v18, vcc
	v_add_u32_e32 v16, v18, v16
	v_cmp_lt_u32_e32 vcc, 1, v17
	s_nop 0
	v_mov_b32_dpp v18, v16 row_shr:2 row_mask:0xf bank_mask:0xf
	v_cndmask_b32_e32 v18, 0, v18, vcc
	v_add_u32_e32 v16, v16, v18
	v_cmp_lt_u32_e32 vcc, 3, v17
	s_nop 0
	v_mov_b32_dpp v18, v16 row_shr:4 row_mask:0xf bank_mask:0xf
	;; [unrolled: 5-line block ×3, first 2 shown]
	v_cndmask_b32_e32 v17, 0, v18, vcc
	v_add_u32_e32 v16, v16, v17
	v_bfe_i32 v18, v7, 4, 1
	v_cmp_lt_u32_e32 vcc, 31, v7
	v_mov_b32_dpp v17, v16 row_bcast:15 row_mask:0xf bank_mask:0xf
	v_and_b32_e32 v17, v18, v17
	v_add_u32_e32 v16, v16, v17
	v_and_b32_e32 v18, 0xc0, v0
	v_min_u32_e32 v18, 0x81, v18
	v_mov_b32_dpp v17, v16 row_bcast:31 row_mask:0xf bank_mask:0xf
	v_cndmask_b32_e32 v17, 0, v17, vcc
	v_add_u32_e32 v16, v16, v17
	v_lshrrev_b32_e32 v17, 6, v0
	v_add_u32_e32 v18, 63, v18
	v_cmp_eq_u32_e32 vcc, v18, v0
	v_lshlrev_b32_e32 v17, 2, v17
	s_and_saveexec_b64 s[0:1], vcc
	s_cbranch_execz .LBB26_8
; %bb.7:
	ds_write_b32 v17, v16 offset:6176
.LBB26_8:
	s_or_b64 exec, exec, s[0:1]
	v_cmp_gt_u32_e32 vcc, 4, v0
	s_waitcnt lgkmcnt(0)
	s_barrier
	s_and_saveexec_b64 s[0:1], vcc
	s_cbranch_execz .LBB26_10
; %bb.9:
	ds_read_b32 v18, v12 offset:6176
	v_and_b32_e32 v19, 3, v7
	v_cmp_ne_u32_e32 vcc, 0, v19
	s_waitcnt lgkmcnt(0)
	v_mov_b32_dpp v20, v18 row_shr:1 row_mask:0xf bank_mask:0xf
	v_cndmask_b32_e32 v20, 0, v20, vcc
	v_add_u32_e32 v18, v20, v18
	v_cmp_lt_u32_e32 vcc, 1, v19
	s_nop 0
	v_mov_b32_dpp v20, v18 row_shr:2 row_mask:0xf bank_mask:0xf
	v_cndmask_b32_e32 v19, 0, v20, vcc
	v_add_u32_e32 v18, v18, v19
	ds_write_b32 v12, v18 offset:6176
.LBB26_10:
	s_or_b64 exec, exec, s[0:1]
	v_cmp_lt_u32_e32 vcc, 63, v0
	v_mov_b32_e32 v0, 0
	v_mov_b32_e32 v12, 0
	s_waitcnt lgkmcnt(0)
	s_barrier
	s_and_saveexec_b64 s[0:1], vcc
	s_cbranch_execz .LBB26_12
; %bb.11:
	ds_read_b32 v12, v17 offset:6172
.LBB26_12:
	s_or_b64 exec, exec, s[0:1]
	v_add_u32_e32 v17, -1, v7
	v_and_b32_e32 v18, 64, v7
	v_cmp_lt_i32_e32 vcc, v17, v18
	v_cndmask_b32_e32 v17, v17, v7, vcc
	s_waitcnt lgkmcnt(0)
	v_add_u32_e32 v16, v12, v16
	v_lshlrev_b32_e32 v17, 2, v17
	ds_bpermute_b32 v16, v17, v16
	ds_read_b32 v0, v0 offset:6188
	v_cmp_eq_u32_e32 vcc, 0, v7
	s_lshl_b64 s[0:1], s[6:7], 2
	s_add_u32 s0, s2, s0
	s_waitcnt lgkmcnt(1)
	v_cndmask_b32_e32 v7, v16, v12, vcc
	s_waitcnt lgkmcnt(0)
	v_lshl_add_u32 v0, v0, 16, v7
	v_add_u32_e32 v7, v0, v10
	v_add_u32_e32 v10, v7, v11
	;; [unrolled: 1-line block ×7, first 2 shown]
	ds_write2_b32 v15, v0, v7 offset1:1
	ds_write2_b32 v15, v10, v8 offset0:2 offset1:3
	ds_write2_b32 v15, v9, v4 offset0:4 offset1:5
	;; [unrolled: 1-line block ×3, first 2 shown]
	s_waitcnt lgkmcnt(0)
	s_barrier
	ds_read_u16 v0, v3
	ds_read_u16 v3, v14
	s_addc_u32 s1, s3, s1
	v_lshlrev_b32_e32 v2, 2, v2
	s_waitcnt lgkmcnt(1)
	v_add_u32_sdwa v0, v0, v1 dst_sel:DWORD dst_unused:UNUSED_PAD src0_sel:DWORD src1_sel:WORD_0
	s_waitcnt lgkmcnt(0)
	v_add_u32_sdwa v1, v3, v13 dst_sel:DWORD dst_unused:UNUSED_PAD src0_sel:DWORD src1_sel:WORD_0
	global_store_dwordx2 v2, v[0:1], s[0:1]
	s_endpgm
	.section	.rodata,"a",@progbits
	.p2align	6, 0x0
	.amdhsa_kernel _Z11rank_kernelILj193ELj2ELj4ELb1EL18RadixRankAlgorithm1E6__halfEvPKT4_Pijj
		.amdhsa_group_segment_fixed_size 6192
		.amdhsa_private_segment_fixed_size 0
		.amdhsa_kernarg_size 24
		.amdhsa_user_sgpr_count 6
		.amdhsa_user_sgpr_private_segment_buffer 1
		.amdhsa_user_sgpr_dispatch_ptr 0
		.amdhsa_user_sgpr_queue_ptr 0
		.amdhsa_user_sgpr_kernarg_segment_ptr 1
		.amdhsa_user_sgpr_dispatch_id 0
		.amdhsa_user_sgpr_flat_scratch_init 0
		.amdhsa_user_sgpr_kernarg_preload_length 0
		.amdhsa_user_sgpr_kernarg_preload_offset 0
		.amdhsa_user_sgpr_private_segment_size 0
		.amdhsa_uses_dynamic_stack 0
		.amdhsa_system_sgpr_private_segment_wavefront_offset 0
		.amdhsa_system_sgpr_workgroup_id_x 1
		.amdhsa_system_sgpr_workgroup_id_y 0
		.amdhsa_system_sgpr_workgroup_id_z 0
		.amdhsa_system_sgpr_workgroup_info 0
		.amdhsa_system_vgpr_workitem_id 0
		.amdhsa_next_free_vgpr 21
		.amdhsa_next_free_sgpr 13
		.amdhsa_accum_offset 24
		.amdhsa_reserve_vcc 1
		.amdhsa_reserve_flat_scratch 0
		.amdhsa_float_round_mode_32 0
		.amdhsa_float_round_mode_16_64 0
		.amdhsa_float_denorm_mode_32 3
		.amdhsa_float_denorm_mode_16_64 3
		.amdhsa_dx10_clamp 1
		.amdhsa_ieee_mode 1
		.amdhsa_fp16_overflow 0
		.amdhsa_tg_split 0
		.amdhsa_exception_fp_ieee_invalid_op 0
		.amdhsa_exception_fp_denorm_src 0
		.amdhsa_exception_fp_ieee_div_zero 0
		.amdhsa_exception_fp_ieee_overflow 0
		.amdhsa_exception_fp_ieee_underflow 0
		.amdhsa_exception_fp_ieee_inexact 0
		.amdhsa_exception_int_div_zero 0
	.end_amdhsa_kernel
	.section	.text._Z11rank_kernelILj193ELj2ELj4ELb1EL18RadixRankAlgorithm1E6__halfEvPKT4_Pijj,"axG",@progbits,_Z11rank_kernelILj193ELj2ELj4ELb1EL18RadixRankAlgorithm1E6__halfEvPKT4_Pijj,comdat
.Lfunc_end26:
	.size	_Z11rank_kernelILj193ELj2ELj4ELb1EL18RadixRankAlgorithm1E6__halfEvPKT4_Pijj, .Lfunc_end26-_Z11rank_kernelILj193ELj2ELj4ELb1EL18RadixRankAlgorithm1E6__halfEvPKT4_Pijj
                                        ; -- End function
	.section	.AMDGPU.csdata,"",@progbits
; Kernel info:
; codeLenInByte = 1136
; NumSgprs: 17
; NumVgprs: 21
; NumAgprs: 0
; TotalNumVgprs: 21
; ScratchSize: 0
; MemoryBound: 0
; FloatMode: 240
; IeeeMode: 1
; LDSByteSize: 6192 bytes/workgroup (compile time only)
; SGPRBlocks: 2
; VGPRBlocks: 2
; NumSGPRsForWavesPerEU: 17
; NumVGPRsForWavesPerEU: 21
; AccumOffset: 24
; Occupancy: 8
; WaveLimiterHint : 0
; COMPUTE_PGM_RSRC2:SCRATCH_EN: 0
; COMPUTE_PGM_RSRC2:USER_SGPR: 6
; COMPUTE_PGM_RSRC2:TRAP_HANDLER: 0
; COMPUTE_PGM_RSRC2:TGID_X_EN: 1
; COMPUTE_PGM_RSRC2:TGID_Y_EN: 0
; COMPUTE_PGM_RSRC2:TGID_Z_EN: 0
; COMPUTE_PGM_RSRC2:TIDIG_COMP_CNT: 0
; COMPUTE_PGM_RSRC3_GFX90A:ACCUM_OFFSET: 5
; COMPUTE_PGM_RSRC3_GFX90A:TG_SPLIT: 0
	.section	.text._Z11rank_kernelILj162ELj2ELj6ELb1EL18RadixRankAlgorithm1EjEvPKT4_Pijj,"axG",@progbits,_Z11rank_kernelILj162ELj2ELj6ELb1EL18RadixRankAlgorithm1EjEvPKT4_Pijj,comdat
	.protected	_Z11rank_kernelILj162ELj2ELj6ELb1EL18RadixRankAlgorithm1EjEvPKT4_Pijj ; -- Begin function _Z11rank_kernelILj162ELj2ELj6ELb1EL18RadixRankAlgorithm1EjEvPKT4_Pijj
	.globl	_Z11rank_kernelILj162ELj2ELj6ELb1EL18RadixRankAlgorithm1EjEvPKT4_Pijj
	.p2align	8
	.type	_Z11rank_kernelILj162ELj2ELj6ELb1EL18RadixRankAlgorithm1EjEvPKT4_Pijj,@function
_Z11rank_kernelILj162ELj2ELj6ELb1EL18RadixRankAlgorithm1EjEvPKT4_Pijj: ; @_Z11rank_kernelILj162ELj2ELj6ELb1EL18RadixRankAlgorithm1EjEvPKT4_Pijj
; %bb.0:
	s_load_dwordx4 s[0:3], s[4:5], 0x0
	s_mulk_i32 s6, 0x144
	s_mov_b32 s7, 0
	s_lshl_b64 s[6:7], s[6:7], 2
	v_lshlrev_b32_e32 v1, 3, v0
	s_waitcnt lgkmcnt(0)
	s_add_u32 s0, s0, s6
	s_addc_u32 s1, s1, s7
	global_load_dwordx2 v[4:5], v1, s[0:1]
	v_sub_u32_e32 v1, 0x139d, v0
	s_mov_b32 s0, 0x1948b10
	v_mul_hi_u32 v1, v1, s0
	v_add_u32_e32 v9, 2, v1
	v_and_b32_e32 v3, 60, v9
	v_add_u32_e32 v1, 0xa2, v0
	v_lshlrev_b32_e32 v2, 1, v0
	v_mov_b32_e32 v8, 0
	s_mov_b64 s[0:1], 0
	v_mov_b32_e32 v10, v3
	v_pk_mov_b32 v[6:7], v[0:1], v[0:1] op_sel:[0,1]
.LBB27_1:                               ; =>This Inner Loop Header: Depth=1
	v_add_u32_e32 v10, -4, v10
	v_cmp_eq_u32_e32 vcc, 0, v10
	v_lshlrev_b32_e32 v1, 2, v7
	v_lshlrev_b32_e32 v11, 2, v6
	v_add_u32_e32 v7, 0x288, v7
	v_add_u32_e32 v6, 0x288, v6
	s_or_b64 s[0:1], vcc, s[0:1]
	ds_write_b32 v11, v8
	ds_write_b32 v1, v8
	ds_write_b32 v11, v8 offset:1296
	ds_write_b32 v1, v8 offset:1296
	s_andn2_b64 exec, exec, s[0:1]
	s_cbranch_execnz .LBB27_1
; %bb.2:
	s_or_b64 exec, exec, s[0:1]
	v_cmp_ne_u32_e32 vcc, v9, v3
	s_and_saveexec_b64 s[0:1], vcc
	s_cbranch_execz .LBB27_5
; %bb.3:
	s_movk_i32 s8, 0xa2
	v_mad_u32_u24 v3, v3, s8, v0
	v_lshlrev_b32_e32 v1, 2, v3
	v_add_u32_e32 v3, 0xffffff5e, v3
	s_mov_b64 s[8:9], 0
	v_mov_b32_e32 v6, 0
	s_movk_i32 s10, 0x139d
.LBB27_4:                               ; =>This Inner Loop Header: Depth=1
	v_add_u32_e32 v3, 0xa2, v3
	v_cmp_lt_u32_e32 vcc, s10, v3
	ds_write_b32 v1, v6
	s_or_b64 s[8:9], vcc, s[8:9]
	v_add_u32_e32 v1, 0x288, v1
	s_andn2_b64 exec, exec, s[8:9]
	s_cbranch_execnz .LBB27_4
.LBB27_5:
	s_or_b64 exec, exec, s[0:1]
	s_load_dwordx2 s[0:1], s[4:5], 0x10
	v_lshlrev_b32_e32 v38, 7, v0
	s_waitcnt lgkmcnt(0)
	s_and_b32 s1, s1, 31
	s_cmp_eq_u32 s1, 0
	s_cselect_b64 s[4:5], -1, 0
	s_and_b32 s0, s0, 31
	s_add_i32 s0, s0, s1
	s_sub_i32 s0, 32, s0
	s_sub_i32 s8, 32, s1
	s_waitcnt vmcnt(0)
	v_lshlrev_b32_e32 v1, s0, v4
	v_lshrrev_b32_e32 v1, s8, v1
	v_xor_b32_e32 v1, 63, v1
	v_cndmask_b32_e64 v1, v1, 63, s[4:5]
	v_and_b32_e32 v3, 31, v1
	v_mul_u32_u24_e32 v3, 0xa2, v3
	v_lshrrev_b32_e32 v1, 5, v1
	v_add_lshl_u32 v3, v3, v0, 1
	v_lshlrev_b32_e32 v4, s0, v5
	v_add_lshl_u32 v3, v3, v1, 1
	ds_read_u16 v1, v3
	v_lshrrev_b32_e32 v4, s8, v4
	v_xor_b32_e32 v4, 63, v4
	v_cndmask_b32_e64 v4, v4, 63, s[4:5]
	v_and_b32_e32 v5, 31, v4
	v_mul_u32_u24_e32 v5, 0xa2, v5
	s_waitcnt lgkmcnt(0)
	v_add_u16_e32 v6, 1, v1
	v_lshrrev_b32_e32 v4, 5, v4
	v_add_lshl_u32 v5, v5, v0, 1
	ds_write_b16 v3, v6
	v_add_lshl_u32 v37, v5, v4, 1
	ds_read_u16 v36, v37
	s_waitcnt lgkmcnt(0)
	v_add_u16_e32 v4, 1, v36
	ds_write_b16 v37, v4
	s_waitcnt lgkmcnt(0)
	s_barrier
	ds_read2_b32 v[34:35], v38 offset1:1
	ds_read2_b32 v[32:33], v38 offset0:2 offset1:3
	ds_read2_b32 v[30:31], v38 offset0:4 offset1:5
	;; [unrolled: 1-line block ×15, first 2 shown]
	s_waitcnt lgkmcnt(14)
	v_add_u32_e32 v39, v35, v34
	v_add3_u32 v39, v39, v32, v33
	s_waitcnt lgkmcnt(13)
	v_add3_u32 v39, v39, v30, v31
	s_waitcnt lgkmcnt(12)
	;; [unrolled: 2-line block ×14, first 2 shown]
	v_add3_u32 v39, v39, v6, v7
	v_mbcnt_lo_u32_b32 v7, -1, 0
	v_mbcnt_hi_u32_b32 v7, -1, v7
	v_and_b32_e32 v40, 15, v7
	v_mov_b32_dpp v41, v39 row_shr:1 row_mask:0xf bank_mask:0xf
	v_cmp_ne_u32_e32 vcc, 0, v40
	v_cndmask_b32_e32 v41, 0, v41, vcc
	v_add_u32_e32 v39, v41, v39
	v_cmp_lt_u32_e32 vcc, 1, v40
	s_nop 0
	v_mov_b32_dpp v41, v39 row_shr:2 row_mask:0xf bank_mask:0xf
	v_cndmask_b32_e32 v41, 0, v41, vcc
	v_add_u32_e32 v39, v39, v41
	v_cmp_lt_u32_e32 vcc, 3, v40
	s_nop 0
	v_mov_b32_dpp v41, v39 row_shr:4 row_mask:0xf bank_mask:0xf
	v_cndmask_b32_e32 v41, 0, v41, vcc
	v_add_u32_e32 v39, v39, v41
	v_cmp_lt_u32_e32 vcc, 7, v40
	s_nop 0
	v_mov_b32_dpp v41, v39 row_shr:8 row_mask:0xf bank_mask:0xf
	v_cndmask_b32_e32 v40, 0, v41, vcc
	v_add_u32_e32 v39, v39, v40
	v_bfe_i32 v41, v7, 4, 1
	v_cmp_lt_u32_e32 vcc, 31, v7
	v_mov_b32_dpp v40, v39 row_bcast:15 row_mask:0xf bank_mask:0xf
	v_and_b32_e32 v40, v41, v40
	v_add_u32_e32 v39, v39, v40
	v_and_b32_e32 v41, 0xc0, v0
	v_min_u32_e32 v41, 0x62, v41
	v_mov_b32_dpp v40, v39 row_bcast:31 row_mask:0xf bank_mask:0xf
	v_cndmask_b32_e32 v40, 0, v40, vcc
	v_add_u32_e32 v39, v39, v40
	v_lshrrev_b32_e32 v40, 6, v0
	v_add_u32_e32 v41, 63, v41
	v_cmp_eq_u32_e32 vcc, v41, v0
	v_lshlrev_b32_e32 v40, 2, v40
	s_and_saveexec_b64 s[0:1], vcc
	s_cbranch_execz .LBB27_7
; %bb.6:
	ds_write_b32 v40, v39 offset:20736
.LBB27_7:
	s_or_b64 exec, exec, s[0:1]
	v_cmp_gt_u32_e32 vcc, 3, v0
	s_waitcnt lgkmcnt(0)
	s_barrier
	s_and_saveexec_b64 s[0:1], vcc
	s_cbranch_execz .LBB27_9
; %bb.8:
	v_lshlrev_b32_e32 v41, 2, v0
	ds_read_b32 v42, v41 offset:20736
	v_and_b32_e32 v43, 3, v7
	v_cmp_ne_u32_e32 vcc, 0, v43
	s_waitcnt lgkmcnt(0)
	v_mov_b32_dpp v44, v42 row_shr:1 row_mask:0xf bank_mask:0xf
	v_cndmask_b32_e32 v44, 0, v44, vcc
	v_add_u32_e32 v42, v44, v42
	v_cmp_lt_u32_e32 vcc, 1, v43
	s_nop 0
	v_mov_b32_dpp v44, v42 row_shr:2 row_mask:0xf bank_mask:0xf
	v_cndmask_b32_e32 v43, 0, v44, vcc
	v_add_u32_e32 v42, v42, v43
	ds_write_b32 v41, v42 offset:20736
.LBB27_9:
	s_or_b64 exec, exec, s[0:1]
	v_cmp_lt_u32_e32 vcc, 63, v0
	v_mov_b32_e32 v0, 0
	v_mov_b32_e32 v41, 0
	s_waitcnt lgkmcnt(0)
	s_barrier
	s_and_saveexec_b64 s[0:1], vcc
	s_cbranch_execz .LBB27_11
; %bb.10:
	ds_read_b32 v41, v40 offset:20732
.LBB27_11:
	s_or_b64 exec, exec, s[0:1]
	v_add_u32_e32 v40, -1, v7
	v_and_b32_e32 v42, 64, v7
	v_cmp_lt_i32_e32 vcc, v40, v42
	v_cndmask_b32_e32 v40, v40, v7, vcc
	s_waitcnt lgkmcnt(0)
	v_add_u32_e32 v39, v41, v39
	v_lshlrev_b32_e32 v40, 2, v40
	ds_bpermute_b32 v39, v40, v39
	ds_read_b32 v0, v0 offset:20744
	v_cmp_eq_u32_e32 vcc, 0, v7
	s_add_u32 s0, s2, s6
	s_addc_u32 s1, s3, s7
	s_waitcnt lgkmcnt(1)
	v_cndmask_b32_e32 v7, v39, v41, vcc
	s_waitcnt lgkmcnt(0)
	v_lshl_add_u32 v0, v0, 16, v7
	v_add_u32_e32 v7, v0, v34
	v_add_u32_e32 v34, v7, v35
	;; [unrolled: 1-line block ×31, first 2 shown]
	ds_write2_b32 v38, v0, v7 offset1:1
	ds_write2_b32 v38, v34, v32 offset0:2 offset1:3
	ds_write2_b32 v38, v33, v30 offset0:4 offset1:5
	;; [unrolled: 1-line block ×15, first 2 shown]
	s_waitcnt lgkmcnt(0)
	s_barrier
	ds_read_u16 v0, v3
	ds_read_u16 v3, v37
	v_lshlrev_b32_e32 v2, 2, v2
	s_waitcnt lgkmcnt(1)
	v_add_u32_sdwa v0, v0, v1 dst_sel:DWORD dst_unused:UNUSED_PAD src0_sel:DWORD src1_sel:WORD_0
	s_waitcnt lgkmcnt(0)
	v_add_u32_sdwa v1, v3, v36 dst_sel:DWORD dst_unused:UNUSED_PAD src0_sel:DWORD src1_sel:WORD_0
	global_store_dwordx2 v2, v[0:1], s[0:1]
	s_endpgm
	.section	.rodata,"a",@progbits
	.p2align	6, 0x0
	.amdhsa_kernel _Z11rank_kernelILj162ELj2ELj6ELb1EL18RadixRankAlgorithm1EjEvPKT4_Pijj
		.amdhsa_group_segment_fixed_size 20752
		.amdhsa_private_segment_fixed_size 0
		.amdhsa_kernarg_size 24
		.amdhsa_user_sgpr_count 6
		.amdhsa_user_sgpr_private_segment_buffer 1
		.amdhsa_user_sgpr_dispatch_ptr 0
		.amdhsa_user_sgpr_queue_ptr 0
		.amdhsa_user_sgpr_kernarg_segment_ptr 1
		.amdhsa_user_sgpr_dispatch_id 0
		.amdhsa_user_sgpr_flat_scratch_init 0
		.amdhsa_user_sgpr_kernarg_preload_length 0
		.amdhsa_user_sgpr_kernarg_preload_offset 0
		.amdhsa_user_sgpr_private_segment_size 0
		.amdhsa_uses_dynamic_stack 0
		.amdhsa_system_sgpr_private_segment_wavefront_offset 0
		.amdhsa_system_sgpr_workgroup_id_x 1
		.amdhsa_system_sgpr_workgroup_id_y 0
		.amdhsa_system_sgpr_workgroup_id_z 0
		.amdhsa_system_sgpr_workgroup_info 0
		.amdhsa_system_vgpr_workitem_id 0
		.amdhsa_next_free_vgpr 45
		.amdhsa_next_free_sgpr 11
		.amdhsa_accum_offset 48
		.amdhsa_reserve_vcc 1
		.amdhsa_reserve_flat_scratch 0
		.amdhsa_float_round_mode_32 0
		.amdhsa_float_round_mode_16_64 0
		.amdhsa_float_denorm_mode_32 3
		.amdhsa_float_denorm_mode_16_64 3
		.amdhsa_dx10_clamp 1
		.amdhsa_ieee_mode 1
		.amdhsa_fp16_overflow 0
		.amdhsa_tg_split 0
		.amdhsa_exception_fp_ieee_invalid_op 0
		.amdhsa_exception_fp_denorm_src 0
		.amdhsa_exception_fp_ieee_div_zero 0
		.amdhsa_exception_fp_ieee_overflow 0
		.amdhsa_exception_fp_ieee_underflow 0
		.amdhsa_exception_fp_ieee_inexact 0
		.amdhsa_exception_int_div_zero 0
	.end_amdhsa_kernel
	.section	.text._Z11rank_kernelILj162ELj2ELj6ELb1EL18RadixRankAlgorithm1EjEvPKT4_Pijj,"axG",@progbits,_Z11rank_kernelILj162ELj2ELj6ELb1EL18RadixRankAlgorithm1EjEvPKT4_Pijj,comdat
.Lfunc_end27:
	.size	_Z11rank_kernelILj162ELj2ELj6ELb1EL18RadixRankAlgorithm1EjEvPKT4_Pijj, .Lfunc_end27-_Z11rank_kernelILj162ELj2ELj6ELb1EL18RadixRankAlgorithm1EjEvPKT4_Pijj
                                        ; -- End function
	.section	.AMDGPU.csdata,"",@progbits
; Kernel info:
; codeLenInByte = 1536
; NumSgprs: 15
; NumVgprs: 45
; NumAgprs: 0
; TotalNumVgprs: 45
; ScratchSize: 0
; MemoryBound: 0
; FloatMode: 240
; IeeeMode: 1
; LDSByteSize: 20752 bytes/workgroup (compile time only)
; SGPRBlocks: 1
; VGPRBlocks: 5
; NumSGPRsForWavesPerEU: 15
; NumVGPRsForWavesPerEU: 45
; AccumOffset: 48
; Occupancy: 3
; WaveLimiterHint : 0
; COMPUTE_PGM_RSRC2:SCRATCH_EN: 0
; COMPUTE_PGM_RSRC2:USER_SGPR: 6
; COMPUTE_PGM_RSRC2:TRAP_HANDLER: 0
; COMPUTE_PGM_RSRC2:TGID_X_EN: 1
; COMPUTE_PGM_RSRC2:TGID_Y_EN: 0
; COMPUTE_PGM_RSRC2:TGID_Z_EN: 0
; COMPUTE_PGM_RSRC2:TIDIG_COMP_CNT: 0
; COMPUTE_PGM_RSRC3_GFX90A:ACCUM_OFFSET: 11
; COMPUTE_PGM_RSRC3_GFX90A:TG_SPLIT: 0
	.section	.text._Z11rank_kernelILj60ELj1ELj3ELb1EL18RadixRankAlgorithm1EfEvPKT4_Pijj,"axG",@progbits,_Z11rank_kernelILj60ELj1ELj3ELb1EL18RadixRankAlgorithm1EfEvPKT4_Pijj,comdat
	.protected	_Z11rank_kernelILj60ELj1ELj3ELb1EL18RadixRankAlgorithm1EfEvPKT4_Pijj ; -- Begin function _Z11rank_kernelILj60ELj1ELj3ELb1EL18RadixRankAlgorithm1EfEvPKT4_Pijj
	.globl	_Z11rank_kernelILj60ELj1ELj3ELb1EL18RadixRankAlgorithm1EfEvPKT4_Pijj
	.p2align	8
	.type	_Z11rank_kernelILj60ELj1ELj3ELb1EL18RadixRankAlgorithm1EfEvPKT4_Pijj,@function
_Z11rank_kernelILj60ELj1ELj3ELb1EL18RadixRankAlgorithm1EfEvPKT4_Pijj: ; @_Z11rank_kernelILj60ELj1ELj3ELb1EL18RadixRankAlgorithm1EfEvPKT4_Pijj
; %bb.0:
	s_load_dwordx4 s[0:3], s[4:5], 0x0
	s_mul_i32 s8, s6, 60
	s_mov_b32 s9, 0
	s_lshl_b64 s[6:7], s[8:9], 2
	v_lshlrev_b32_e32 v6, 2, v0
	s_waitcnt lgkmcnt(0)
	s_add_u32 s0, s0, s6
	s_addc_u32 s1, s1, s7
	global_load_dword v7, v6, s[0:1]
	s_movk_i32 s0, 0xf0
	v_cmp_gt_u32_e32 vcc, s0, v0
	s_and_saveexec_b64 s[10:11], vcc
	s_cbranch_execz .LBB28_7
; %bb.1:
	s_movk_i32 s0, 0xb4
	v_mov_b32_e32 v1, 0xb4
	v_cmp_gt_u32_e32 vcc, s0, v0
	v_subb_co_u32_e64 v1, s[0:1], v1, v0, vcc
	s_mov_b32 s0, 0x88888889
	v_mul_hi_u32 v1, v1, s0
	v_lshrrev_b32_e32 v1, 5, v1
	v_addc_co_u32_e64 v2, s[0:1], 0, v1, vcc
	v_addc_co_u32_e32 v1, vcc, 2, v1, vcc
	v_and_b32_e32 v8, 14, v1
	v_add_u32_e32 v1, 60, v0
	v_mov_b32_e32 v3, v2
	s_mov_b64 s[12:13], 0
	v_mov_b32_e32 v9, 0
	v_pk_mov_b32 v[4:5], v[0:1], v[0:1] op_sel:[0,1]
	s_branch .LBB28_3
.LBB28_2:                               ;   in Loop: Header=BB28_3 Depth=1
	s_or_b64 exec, exec, s[0:1]
	s_add_i32 s9, s9, 2
	v_cmp_eq_u32_e32 vcc, s9, v8
	v_add_u32_e32 v5, 0x78, v5
	s_or_b64 s[12:13], vcc, s[12:13]
	v_add_u32_e32 v4, 0x78, v4
	s_andn2_b64 exec, exec, s[12:13]
	s_cbranch_execz .LBB28_7
.LBB28_3:                               ; =>This Inner Loop Header: Depth=1
	s_or_b32 s0, s9, 1
	v_cmp_le_u32_e32 vcc, s0, v3
	v_cmp_le_u32_e64 s[0:1], s9, v2
	s_and_saveexec_b64 s[14:15], s[0:1]
	s_cbranch_execz .LBB28_5
; %bb.4:                                ;   in Loop: Header=BB28_3 Depth=1
	v_lshlrev_b32_e32 v1, 2, v4
	ds_write_b32 v1, v9
.LBB28_5:                               ;   in Loop: Header=BB28_3 Depth=1
	s_or_b64 exec, exec, s[14:15]
	s_and_saveexec_b64 s[0:1], vcc
	s_cbranch_execz .LBB28_2
; %bb.6:                                ;   in Loop: Header=BB28_3 Depth=1
	v_lshlrev_b32_e32 v1, 2, v5
	ds_write_b32 v1, v9
	s_branch .LBB28_2
.LBB28_7:
	s_or_b64 exec, exec, s[10:11]
	s_load_dwordx2 s[0:1], s[4:5], 0x10
	v_bfrev_b32_e32 v1, 1
	s_waitcnt vmcnt(0)
	v_cmp_lt_i32_e32 vcc, -1, v7
	v_cndmask_b32_e32 v2, -1, v1, vcc
	v_xor_b32_e32 v2, v2, v7
	s_brev_b32 s4, -2
	s_waitcnt lgkmcnt(0)
	s_and_b32 s1, s1, 31
	s_and_b32 s0, s0, 31
	v_cmp_ne_u32_e32 vcc, s4, v2
	s_add_i32 s0, s0, s1
	v_cndmask_b32_e32 v1, v1, v2, vcc
	s_sub_i32 s0, 32, s0
	v_lshlrev_b32_e32 v1, s0, v1
	s_sub_i32 s0, 32, s1
	v_lshrrev_b32_e32 v1, s0, v1
	s_cmp_lg_u32 s1, 0
	v_xor_b32_e32 v1, 7, v1
	s_cselect_b64 vcc, -1, 0
	v_cndmask_b32_e32 v1, 7, v1, vcc
	v_and_b32_e32 v2, 3, v1
	v_mul_u32_u24_e32 v2, 60, v2
	v_lshrrev_b32_e32 v1, 2, v1
	v_add_lshl_u32 v2, v2, v0, 1
	v_add_lshl_u32 v1, v2, v1, 1
	ds_read_u16 v7, v1
	v_lshlrev_b32_e32 v8, 4, v0
	s_waitcnt lgkmcnt(0)
	v_add_u16_e32 v2, 1, v7
	ds_write_b16 v1, v2
	s_waitcnt lgkmcnt(0)
	; wave barrier
	s_waitcnt lgkmcnt(0)
	ds_read2_b32 v[2:3], v8 offset1:1
	ds_read2_b32 v[4:5], v8 offset0:2 offset1:3
	s_waitcnt lgkmcnt(1)
	v_add_u32_e32 v9, v3, v2
	s_waitcnt lgkmcnt(0)
	v_add3_u32 v9, v9, v4, v5
	v_mbcnt_lo_u32_b32 v5, -1, 0
	v_mbcnt_hi_u32_b32 v5, -1, v5
	v_and_b32_e32 v10, 15, v5
	v_mov_b32_dpp v11, v9 row_shr:1 row_mask:0xf bank_mask:0xf
	v_cmp_ne_u32_e32 vcc, 0, v10
	v_cndmask_b32_e32 v11, 0, v11, vcc
	v_add_u32_e32 v9, v11, v9
	v_cmp_lt_u32_e32 vcc, 1, v10
	s_nop 0
	v_mov_b32_dpp v11, v9 row_shr:2 row_mask:0xf bank_mask:0xf
	v_cndmask_b32_e32 v11, 0, v11, vcc
	v_add_u32_e32 v9, v9, v11
	v_cmp_lt_u32_e32 vcc, 3, v10
	s_nop 0
	v_mov_b32_dpp v11, v9 row_shr:4 row_mask:0xf bank_mask:0xf
	;; [unrolled: 5-line block ×3, first 2 shown]
	v_cndmask_b32_e32 v10, 0, v11, vcc
	v_add_u32_e32 v9, v9, v10
	v_bfe_i32 v11, v5, 4, 1
	v_cmp_lt_u32_e32 vcc, 31, v5
	v_mov_b32_dpp v10, v9 row_bcast:15 row_mask:0xf bank_mask:0xf
	v_and_b32_e32 v10, v11, v10
	v_add_u32_e32 v9, v9, v10
	s_nop 1
	v_mov_b32_dpp v10, v9 row_bcast:31 row_mask:0xf bank_mask:0xf
	v_cndmask_b32_e32 v10, 0, v10, vcc
	v_add_u32_e32 v9, v9, v10
	v_cmp_eq_u32_e32 vcc, 59, v0
	s_and_saveexec_b64 s[0:1], vcc
	s_cbranch_execz .LBB28_9
; %bb.8:
	v_mov_b32_e32 v0, 0
	ds_write_b32 v0, v9 offset:960
.LBB28_9:
	s_or_b64 exec, exec, s[0:1]
	v_add_u32_e32 v0, -1, v5
	v_and_b32_e32 v10, 64, v5
	v_cmp_lt_i32_e32 vcc, v0, v10
	v_cndmask_b32_e32 v0, v0, v5, vcc
	v_lshlrev_b32_e32 v0, 2, v0
	ds_bpermute_b32 v0, v0, v9
	v_mov_b32_e32 v9, 0
	s_waitcnt lgkmcnt(0)
	; wave barrier
	s_waitcnt lgkmcnt(0)
	ds_read_b32 v9, v9 offset:960
	v_cmp_ne_u32_e32 vcc, 0, v5
	v_cndmask_b32_e32 v0, 0, v0, vcc
	s_add_u32 s0, s2, s6
	s_addc_u32 s1, s3, s7
	s_waitcnt lgkmcnt(0)
	v_lshl_add_u32 v0, v9, 16, v0
	v_add_u32_e32 v2, v0, v2
	v_add_u32_e32 v3, v2, v3
	;; [unrolled: 1-line block ×3, first 2 shown]
	ds_write2_b32 v8, v0, v2 offset1:1
	ds_write2_b32 v8, v3, v4 offset0:2 offset1:3
	s_waitcnt lgkmcnt(0)
	; wave barrier
	s_waitcnt lgkmcnt(0)
	ds_read_u16 v0, v1
	s_waitcnt lgkmcnt(0)
	v_add_u32_sdwa v0, v0, v7 dst_sel:DWORD dst_unused:UNUSED_PAD src0_sel:DWORD src1_sel:WORD_0
	global_store_dword v6, v0, s[0:1]
	s_endpgm
	.section	.rodata,"a",@progbits
	.p2align	6, 0x0
	.amdhsa_kernel _Z11rank_kernelILj60ELj1ELj3ELb1EL18RadixRankAlgorithm1EfEvPKT4_Pijj
		.amdhsa_group_segment_fixed_size 976
		.amdhsa_private_segment_fixed_size 0
		.amdhsa_kernarg_size 24
		.amdhsa_user_sgpr_count 6
		.amdhsa_user_sgpr_private_segment_buffer 1
		.amdhsa_user_sgpr_dispatch_ptr 0
		.amdhsa_user_sgpr_queue_ptr 0
		.amdhsa_user_sgpr_kernarg_segment_ptr 1
		.amdhsa_user_sgpr_dispatch_id 0
		.amdhsa_user_sgpr_flat_scratch_init 0
		.amdhsa_user_sgpr_kernarg_preload_length 0
		.amdhsa_user_sgpr_kernarg_preload_offset 0
		.amdhsa_user_sgpr_private_segment_size 0
		.amdhsa_uses_dynamic_stack 0
		.amdhsa_system_sgpr_private_segment_wavefront_offset 0
		.amdhsa_system_sgpr_workgroup_id_x 1
		.amdhsa_system_sgpr_workgroup_id_y 0
		.amdhsa_system_sgpr_workgroup_id_z 0
		.amdhsa_system_sgpr_workgroup_info 0
		.amdhsa_system_vgpr_workitem_id 0
		.amdhsa_next_free_vgpr 12
		.amdhsa_next_free_sgpr 16
		.amdhsa_accum_offset 12
		.amdhsa_reserve_vcc 1
		.amdhsa_reserve_flat_scratch 0
		.amdhsa_float_round_mode_32 0
		.amdhsa_float_round_mode_16_64 0
		.amdhsa_float_denorm_mode_32 3
		.amdhsa_float_denorm_mode_16_64 3
		.amdhsa_dx10_clamp 1
		.amdhsa_ieee_mode 1
		.amdhsa_fp16_overflow 0
		.amdhsa_tg_split 0
		.amdhsa_exception_fp_ieee_invalid_op 0
		.amdhsa_exception_fp_denorm_src 0
		.amdhsa_exception_fp_ieee_div_zero 0
		.amdhsa_exception_fp_ieee_overflow 0
		.amdhsa_exception_fp_ieee_underflow 0
		.amdhsa_exception_fp_ieee_inexact 0
		.amdhsa_exception_int_div_zero 0
	.end_amdhsa_kernel
	.section	.text._Z11rank_kernelILj60ELj1ELj3ELb1EL18RadixRankAlgorithm1EfEvPKT4_Pijj,"axG",@progbits,_Z11rank_kernelILj60ELj1ELj3ELb1EL18RadixRankAlgorithm1EfEvPKT4_Pijj,comdat
.Lfunc_end28:
	.size	_Z11rank_kernelILj60ELj1ELj3ELb1EL18RadixRankAlgorithm1EfEvPKT4_Pijj, .Lfunc_end28-_Z11rank_kernelILj60ELj1ELj3ELb1EL18RadixRankAlgorithm1EfEvPKT4_Pijj
                                        ; -- End function
	.section	.AMDGPU.csdata,"",@progbits
; Kernel info:
; codeLenInByte = 776
; NumSgprs: 20
; NumVgprs: 12
; NumAgprs: 0
; TotalNumVgprs: 12
; ScratchSize: 0
; MemoryBound: 0
; FloatMode: 240
; IeeeMode: 1
; LDSByteSize: 976 bytes/workgroup (compile time only)
; SGPRBlocks: 2
; VGPRBlocks: 1
; NumSGPRsForWavesPerEU: 20
; NumVGPRsForWavesPerEU: 12
; AccumOffset: 12
; Occupancy: 8
; WaveLimiterHint : 0
; COMPUTE_PGM_RSRC2:SCRATCH_EN: 0
; COMPUTE_PGM_RSRC2:USER_SGPR: 6
; COMPUTE_PGM_RSRC2:TRAP_HANDLER: 0
; COMPUTE_PGM_RSRC2:TGID_X_EN: 1
; COMPUTE_PGM_RSRC2:TGID_Y_EN: 0
; COMPUTE_PGM_RSRC2:TGID_Z_EN: 0
; COMPUTE_PGM_RSRC2:TIDIG_COMP_CNT: 0
; COMPUTE_PGM_RSRC3_GFX90A:ACCUM_OFFSET: 2
; COMPUTE_PGM_RSRC3_GFX90A:TG_SPLIT: 0
	.section	.text._Z11rank_kernelILj102ELj3ELj3ELb1EL18RadixRankAlgorithm1EtEvPKT4_Pijj,"axG",@progbits,_Z11rank_kernelILj102ELj3ELj3ELb1EL18RadixRankAlgorithm1EtEvPKT4_Pijj,comdat
	.protected	_Z11rank_kernelILj102ELj3ELj3ELb1EL18RadixRankAlgorithm1EtEvPKT4_Pijj ; -- Begin function _Z11rank_kernelILj102ELj3ELj3ELb1EL18RadixRankAlgorithm1EtEvPKT4_Pijj
	.globl	_Z11rank_kernelILj102ELj3ELj3ELb1EL18RadixRankAlgorithm1EtEvPKT4_Pijj
	.p2align	8
	.type	_Z11rank_kernelILj102ELj3ELj3ELb1EL18RadixRankAlgorithm1EtEvPKT4_Pijj,@function
_Z11rank_kernelILj102ELj3ELj3ELb1EL18RadixRankAlgorithm1EtEvPKT4_Pijj: ; @_Z11rank_kernelILj102ELj3ELj3ELb1EL18RadixRankAlgorithm1EtEvPKT4_Pijj
; %bb.0:
	s_load_dwordx4 s[0:3], s[4:5], 0x0
	s_mulk_i32 s6, 0x132
	s_mov_b32 s7, 0
	s_lshl_b64 s[8:9], s[6:7], 1
	v_mul_u32_u24_e32 v6, 3, v0
	s_waitcnt lgkmcnt(0)
	s_add_u32 s0, s0, s8
	s_addc_u32 s1, s1, s9
	v_lshlrev_b32_e32 v1, 1, v6
	global_load_dword v7, v1, s[0:1]
	global_load_ushort v10, v1, s[0:1] offset:4
	s_movk_i32 s1, 0x198
	s_movk_i32 s0, 0x132
	v_cmp_gt_u32_e32 vcc, s1, v0
	s_and_saveexec_b64 s[8:9], vcc
	s_cbranch_execz .LBB29_7
; %bb.1:
	v_mov_b32_e32 v1, 0x132
	v_cmp_gt_u32_e32 vcc, s0, v0
	v_subb_co_u32_e64 v1, s[0:1], v1, v0, vcc
	s_mov_b32 s0, 0xa0a0a0a1
	v_mul_hi_u32 v1, v1, s0
	v_lshrrev_b32_e32 v1, 6, v1
	v_addc_co_u32_e64 v2, s[0:1], 0, v1, vcc
	v_addc_co_u32_e32 v1, vcc, 2, v1, vcc
	v_and_b32_e32 v8, 14, v1
	v_add_u32_e32 v1, 0x66, v0
	v_mov_b32_e32 v3, v2
	s_mov_b64 s[10:11], 0
	v_mov_b32_e32 v9, 0
	s_mov_b32 s14, s7
	v_pk_mov_b32 v[4:5], v[0:1], v[0:1] op_sel:[0,1]
	s_branch .LBB29_3
.LBB29_2:                               ;   in Loop: Header=BB29_3 Depth=1
	s_or_b64 exec, exec, s[0:1]
	s_add_i32 s14, s14, 2
	v_cmp_eq_u32_e32 vcc, s14, v8
	v_add_u32_e32 v5, 0xcc, v5
	s_or_b64 s[10:11], vcc, s[10:11]
	v_add_u32_e32 v4, 0xcc, v4
	s_andn2_b64 exec, exec, s[10:11]
	s_cbranch_execz .LBB29_7
.LBB29_3:                               ; =>This Inner Loop Header: Depth=1
	s_or_b32 s0, s14, 1
	v_cmp_le_u32_e32 vcc, s0, v3
	v_cmp_le_u32_e64 s[0:1], s14, v2
	s_and_saveexec_b64 s[12:13], s[0:1]
	s_cbranch_execz .LBB29_5
; %bb.4:                                ;   in Loop: Header=BB29_3 Depth=1
	v_lshlrev_b32_e32 v1, 2, v4
	ds_write_b32 v1, v9
.LBB29_5:                               ;   in Loop: Header=BB29_3 Depth=1
	s_or_b64 exec, exec, s[12:13]
	s_and_saveexec_b64 s[0:1], vcc
	s_cbranch_execz .LBB29_2
; %bb.6:                                ;   in Loop: Header=BB29_3 Depth=1
	v_lshlrev_b32_e32 v1, 2, v5
	ds_write_b32 v1, v9
	s_branch .LBB29_2
.LBB29_7:
	s_or_b64 exec, exec, s[8:9]
	s_load_dwordx2 s[0:1], s[4:5], 0x10
	v_lshlrev_b32_e32 v12, 4, v0
	s_waitcnt lgkmcnt(0)
	s_and_b32 s1, s1, 31
	s_cmp_eq_u32 s1, 0
	s_cselect_b64 s[4:5], -1, 0
	s_and_b32 s0, s0, 31
	s_add_i32 s0, s0, s1
	s_sub_i32 s0, 32, s0
	s_sub_i32 s8, 32, s1
	s_waitcnt vmcnt(1)
	v_lshlrev_b32_sdwa v1, s0, v7 dst_sel:DWORD dst_unused:UNUSED_PAD src0_sel:DWORD src1_sel:WORD_0
	v_bfe_u32 v1, v1, s8, 16
	v_xor_b32_e32 v1, 7, v1
	v_cndmask_b32_e64 v1, v1, 7, s[4:5]
	v_and_b32_e32 v3, 3, v1
	v_mul_u32_u24_e32 v3, 0x66, v3
	v_lshrrev_b32_e32 v1, 2, v1
	v_add_lshl_u32 v3, v3, v0, 1
	v_lshlrev_b32_sdwa v2, s0, v7 dst_sel:DWORD dst_unused:UNUSED_PAD src0_sel:DWORD src1_sel:WORD_1
	v_add_lshl_u32 v7, v3, v1, 1
	ds_read_u16 v1, v7
	v_bfe_u32 v2, v2, s8, 16
	v_xor_b32_e32 v2, 7, v2
	v_cndmask_b32_e64 v2, v2, 7, s[4:5]
	v_and_b32_e32 v3, 3, v2
	v_mul_u32_u24_e32 v3, 0x66, v3
	s_waitcnt lgkmcnt(0)
	v_add_u16_e32 v4, 1, v1
	v_lshrrev_b32_e32 v2, 2, v2
	v_add_lshl_u32 v3, v3, v0, 1
	ds_write_b16 v7, v4
	v_add_lshl_u32 v9, v3, v2, 1
	ds_read_u16 v8, v9
	s_waitcnt lgkmcnt(0)
	v_add_u16_e32 v2, 1, v8
	ds_write_b16 v9, v2
	s_waitcnt vmcnt(0)
	v_lshlrev_b32_sdwa v2, s0, v10 dst_sel:DWORD dst_unused:UNUSED_PAD src0_sel:DWORD src1_sel:WORD_0
	v_bfe_u32 v2, v2, s8, 16
	v_xor_b32_e32 v2, 7, v2
	v_cndmask_b32_e64 v2, v2, 7, s[4:5]
	v_and_b32_e32 v3, 3, v2
	v_mul_u32_u24_e32 v3, 0x66, v3
	v_lshrrev_b32_e32 v2, 2, v2
	v_add_lshl_u32 v3, v3, v0, 1
	v_add_lshl_u32 v11, v3, v2, 1
	ds_read_u16 v10, v11
	s_waitcnt lgkmcnt(0)
	v_add_u16_e32 v2, 1, v10
	ds_write_b16 v11, v2
	s_waitcnt lgkmcnt(0)
	s_barrier
	ds_read2_b32 v[2:3], v12 offset1:1
	ds_read2_b32 v[4:5], v12 offset0:2 offset1:3
	s_waitcnt lgkmcnt(1)
	v_add_u32_e32 v13, v3, v2
	s_waitcnt lgkmcnt(0)
	v_add3_u32 v13, v13, v4, v5
	v_mbcnt_lo_u32_b32 v5, -1, 0
	v_mbcnt_hi_u32_b32 v5, -1, v5
	v_and_b32_e32 v14, 15, v5
	v_mov_b32_dpp v15, v13 row_shr:1 row_mask:0xf bank_mask:0xf
	v_cmp_ne_u32_e32 vcc, 0, v14
	v_cndmask_b32_e32 v15, 0, v15, vcc
	v_add_u32_e32 v13, v15, v13
	v_cmp_lt_u32_e32 vcc, 1, v14
	s_nop 0
	v_mov_b32_dpp v15, v13 row_shr:2 row_mask:0xf bank_mask:0xf
	v_cndmask_b32_e32 v15, 0, v15, vcc
	v_add_u32_e32 v13, v13, v15
	v_cmp_lt_u32_e32 vcc, 3, v14
	s_nop 0
	v_mov_b32_dpp v15, v13 row_shr:4 row_mask:0xf bank_mask:0xf
	;; [unrolled: 5-line block ×3, first 2 shown]
	v_cndmask_b32_e32 v14, 0, v15, vcc
	v_add_u32_e32 v13, v13, v14
	v_bfe_i32 v15, v5, 4, 1
	v_cmp_lt_u32_e32 vcc, 31, v5
	v_mov_b32_dpp v14, v13 row_bcast:15 row_mask:0xf bank_mask:0xf
	v_and_b32_e32 v14, v15, v14
	v_add_u32_e32 v13, v13, v14
	v_and_b32_e32 v15, 64, v0
	v_min_u32_e32 v15, 38, v15
	v_mov_b32_dpp v14, v13 row_bcast:31 row_mask:0xf bank_mask:0xf
	v_cndmask_b32_e32 v14, 0, v14, vcc
	v_add_u32_e32 v13, v13, v14
	v_lshrrev_b32_e32 v14, 6, v0
	v_add_u32_e32 v15, 63, v15
	v_cmp_eq_u32_e32 vcc, v15, v0
	v_lshlrev_b32_e32 v14, 2, v14
	s_and_saveexec_b64 s[0:1], vcc
	s_cbranch_execz .LBB29_9
; %bb.8:
	ds_write_b32 v14, v13 offset:1632
.LBB29_9:
	s_or_b64 exec, exec, s[0:1]
	v_cmp_gt_u32_e32 vcc, 2, v0
	s_waitcnt lgkmcnt(0)
	s_barrier
	s_and_saveexec_b64 s[0:1], vcc
	s_cbranch_execz .LBB29_11
; %bb.10:
	v_lshlrev_b32_e32 v15, 2, v0
	ds_read_b32 v16, v15 offset:1632
	v_bfe_i32 v17, v5, 0, 1
	s_waitcnt lgkmcnt(0)
	v_mov_b32_dpp v18, v16 row_shr:1 row_mask:0xf bank_mask:0xf
	v_and_b32_e32 v17, v17, v18
	v_add_u32_e32 v16, v17, v16
	ds_write_b32 v15, v16 offset:1632
.LBB29_11:
	s_or_b64 exec, exec, s[0:1]
	v_cmp_lt_u32_e32 vcc, 63, v0
	v_mov_b32_e32 v0, 0
	v_mov_b32_e32 v15, 0
	s_waitcnt lgkmcnt(0)
	s_barrier
	s_and_saveexec_b64 s[0:1], vcc
	s_cbranch_execz .LBB29_13
; %bb.12:
	ds_read_b32 v15, v14 offset:1628
.LBB29_13:
	s_or_b64 exec, exec, s[0:1]
	v_add_u32_e32 v14, -1, v5
	v_and_b32_e32 v16, 64, v5
	v_cmp_lt_i32_e32 vcc, v14, v16
	v_cndmask_b32_e32 v14, v14, v5, vcc
	s_waitcnt lgkmcnt(0)
	v_add_u32_e32 v13, v15, v13
	v_lshlrev_b32_e32 v14, 2, v14
	ds_bpermute_b32 v13, v14, v13
	ds_read_b32 v0, v0 offset:1636
	v_cmp_eq_u32_e32 vcc, 0, v5
	s_lshl_b64 s[0:1], s[6:7], 2
	s_add_u32 s0, s2, s0
	s_waitcnt lgkmcnt(1)
	v_cndmask_b32_e32 v5, v13, v15, vcc
	s_waitcnt lgkmcnt(0)
	v_lshl_add_u32 v0, v0, 16, v5
	v_add_u32_e32 v2, v0, v2
	v_add_u32_e32 v3, v2, v3
	;; [unrolled: 1-line block ×3, first 2 shown]
	ds_write2_b32 v12, v0, v2 offset1:1
	ds_write2_b32 v12, v3, v4 offset0:2 offset1:3
	s_waitcnt lgkmcnt(0)
	s_barrier
	ds_read_u16 v0, v7
	ds_read_u16 v2, v9
	;; [unrolled: 1-line block ×3, first 2 shown]
	s_addc_u32 s1, s3, s1
	s_waitcnt lgkmcnt(2)
	v_add_u32_sdwa v0, v0, v1 dst_sel:DWORD dst_unused:UNUSED_PAD src0_sel:DWORD src1_sel:WORD_0
	s_waitcnt lgkmcnt(1)
	v_add_u32_sdwa v1, v2, v8 dst_sel:DWORD dst_unused:UNUSED_PAD src0_sel:DWORD src1_sel:WORD_0
	s_waitcnt lgkmcnt(0)
	v_add_u32_sdwa v2, v3, v10 dst_sel:DWORD dst_unused:UNUSED_PAD src0_sel:DWORD src1_sel:WORD_0
	v_lshlrev_b32_e32 v3, 2, v6
	global_store_dwordx3 v3, v[0:2], s[0:1]
	s_endpgm
	.section	.rodata,"a",@progbits
	.p2align	6, 0x0
	.amdhsa_kernel _Z11rank_kernelILj102ELj3ELj3ELb1EL18RadixRankAlgorithm1EtEvPKT4_Pijj
		.amdhsa_group_segment_fixed_size 1648
		.amdhsa_private_segment_fixed_size 0
		.amdhsa_kernarg_size 24
		.amdhsa_user_sgpr_count 6
		.amdhsa_user_sgpr_private_segment_buffer 1
		.amdhsa_user_sgpr_dispatch_ptr 0
		.amdhsa_user_sgpr_queue_ptr 0
		.amdhsa_user_sgpr_kernarg_segment_ptr 1
		.amdhsa_user_sgpr_dispatch_id 0
		.amdhsa_user_sgpr_flat_scratch_init 0
		.amdhsa_user_sgpr_kernarg_preload_length 0
		.amdhsa_user_sgpr_kernarg_preload_offset 0
		.amdhsa_user_sgpr_private_segment_size 0
		.amdhsa_uses_dynamic_stack 0
		.amdhsa_system_sgpr_private_segment_wavefront_offset 0
		.amdhsa_system_sgpr_workgroup_id_x 1
		.amdhsa_system_sgpr_workgroup_id_y 0
		.amdhsa_system_sgpr_workgroup_id_z 0
		.amdhsa_system_sgpr_workgroup_info 0
		.amdhsa_system_vgpr_workitem_id 0
		.amdhsa_next_free_vgpr 19
		.amdhsa_next_free_sgpr 15
		.amdhsa_accum_offset 20
		.amdhsa_reserve_vcc 1
		.amdhsa_reserve_flat_scratch 0
		.amdhsa_float_round_mode_32 0
		.amdhsa_float_round_mode_16_64 0
		.amdhsa_float_denorm_mode_32 3
		.amdhsa_float_denorm_mode_16_64 3
		.amdhsa_dx10_clamp 1
		.amdhsa_ieee_mode 1
		.amdhsa_fp16_overflow 0
		.amdhsa_tg_split 0
		.amdhsa_exception_fp_ieee_invalid_op 0
		.amdhsa_exception_fp_denorm_src 0
		.amdhsa_exception_fp_ieee_div_zero 0
		.amdhsa_exception_fp_ieee_overflow 0
		.amdhsa_exception_fp_ieee_underflow 0
		.amdhsa_exception_fp_ieee_inexact 0
		.amdhsa_exception_int_div_zero 0
	.end_amdhsa_kernel
	.section	.text._Z11rank_kernelILj102ELj3ELj3ELb1EL18RadixRankAlgorithm1EtEvPKT4_Pijj,"axG",@progbits,_Z11rank_kernelILj102ELj3ELj3ELb1EL18RadixRankAlgorithm1EtEvPKT4_Pijj,comdat
.Lfunc_end29:
	.size	_Z11rank_kernelILj102ELj3ELj3ELb1EL18RadixRankAlgorithm1EtEvPKT4_Pijj, .Lfunc_end29-_Z11rank_kernelILj102ELj3ELj3ELb1EL18RadixRankAlgorithm1EtEvPKT4_Pijj
                                        ; -- End function
	.section	.AMDGPU.csdata,"",@progbits
; Kernel info:
; codeLenInByte = 1128
; NumSgprs: 19
; NumVgprs: 19
; NumAgprs: 0
; TotalNumVgprs: 19
; ScratchSize: 0
; MemoryBound: 0
; FloatMode: 240
; IeeeMode: 1
; LDSByteSize: 1648 bytes/workgroup (compile time only)
; SGPRBlocks: 2
; VGPRBlocks: 2
; NumSGPRsForWavesPerEU: 19
; NumVGPRsForWavesPerEU: 19
; AccumOffset: 20
; Occupancy: 8
; WaveLimiterHint : 0
; COMPUTE_PGM_RSRC2:SCRATCH_EN: 0
; COMPUTE_PGM_RSRC2:USER_SGPR: 6
; COMPUTE_PGM_RSRC2:TRAP_HANDLER: 0
; COMPUTE_PGM_RSRC2:TGID_X_EN: 1
; COMPUTE_PGM_RSRC2:TGID_Y_EN: 0
; COMPUTE_PGM_RSRC2:TGID_Z_EN: 0
; COMPUTE_PGM_RSRC2:TIDIG_COMP_CNT: 0
; COMPUTE_PGM_RSRC3_GFX90A:ACCUM_OFFSET: 4
; COMPUTE_PGM_RSRC3_GFX90A:TG_SPLIT: 0
	.section	.text._Z11rank_kernelILj64ELj1ELj5ELb0EL18RadixRankAlgorithm1EyEvPKT4_Pijj,"axG",@progbits,_Z11rank_kernelILj64ELj1ELj5ELb0EL18RadixRankAlgorithm1EyEvPKT4_Pijj,comdat
	.protected	_Z11rank_kernelILj64ELj1ELj5ELb0EL18RadixRankAlgorithm1EyEvPKT4_Pijj ; -- Begin function _Z11rank_kernelILj64ELj1ELj5ELb0EL18RadixRankAlgorithm1EyEvPKT4_Pijj
	.globl	_Z11rank_kernelILj64ELj1ELj5ELb0EL18RadixRankAlgorithm1EyEvPKT4_Pijj
	.p2align	8
	.type	_Z11rank_kernelILj64ELj1ELj5ELb0EL18RadixRankAlgorithm1EyEvPKT4_Pijj,@function
_Z11rank_kernelILj64ELj1ELj5ELb0EL18RadixRankAlgorithm1EyEvPKT4_Pijj: ; @_Z11rank_kernelILj64ELj1ELj5ELb0EL18RadixRankAlgorithm1EyEvPKT4_Pijj
; %bb.0:
	s_load_dwordx4 s[0:3], s[4:5], 0x0
	s_lshl_b32 s6, s6, 6
	s_mov_b32 s7, 0
	s_lshl_b64 s[8:9], s[6:7], 3
	v_lshlrev_b32_e32 v1, 3, v0
	s_waitcnt lgkmcnt(0)
	s_add_u32 s0, s0, s8
	s_addc_u32 s1, s1, s9
	global_load_dwordx2 v[2:3], v1, s[0:1]
	v_xor_b32_e32 v1, 0x3ff, v0
	s_movk_i32 s0, 0xbf
	v_cmp_lt_u32_e32 vcc, s0, v1
	s_mov_b64 s[8:9], -1
	v_mov_b32_e32 v4, v0
	s_and_saveexec_b64 s[0:1], vcc
	s_cbranch_execz .LBB30_4
; %bb.1:
	v_lshrrev_b32_e32 v1, 6, v1
	v_add_u32_e32 v6, 1, v1
	v_and_b32_e32 v7, 28, v6
	v_or_b32_e32 v1, 64, v0
	s_mov_b64 s[8:9], 0
	v_mov_b32_e32 v8, 0
	v_mov_b32_e32 v9, v7
	v_pk_mov_b32 v[4:5], v[0:1], v[0:1] op_sel:[0,1]
.LBB30_2:                               ; =>This Inner Loop Header: Depth=1
	v_add_u32_e32 v9, -4, v9
	v_cmp_eq_u32_e32 vcc, 0, v9
	v_lshlrev_b32_e32 v1, 2, v5
	v_lshlrev_b32_e32 v10, 2, v4
	v_add_u32_e32 v5, 0x100, v5
	v_add_u32_e32 v4, 0x100, v4
	s_or_b64 s[8:9], vcc, s[8:9]
	ds_write_b32 v10, v8
	ds_write_b32 v1, v8
	ds_write_b32 v10, v8 offset:512
	ds_write_b32 v1, v8 offset:512
	s_andn2_b64 exec, exec, s[8:9]
	s_cbranch_execnz .LBB30_2
; %bb.3:
	s_or_b64 exec, exec, s[8:9]
	v_cmp_ne_u32_e32 vcc, v6, v7
	v_lshl_or_b32 v4, v7, 6, v0
	s_orn2_b64 s[8:9], vcc, exec
.LBB30_4:
	s_or_b64 exec, exec, s[0:1]
	s_and_saveexec_b64 s[0:1], s[8:9]
	s_cbranch_execz .LBB30_7
; %bb.5:
	v_lshlrev_b32_e32 v1, 2, v4
	v_subrev_u32_e32 v4, 64, v4
	s_mov_b64 s[8:9], 0
	v_mov_b32_e32 v5, 0
	s_movk_i32 s10, 0x3bf
.LBB30_6:                               ; =>This Inner Loop Header: Depth=1
	v_add_u32_e32 v4, 64, v4
	v_cmp_lt_u32_e32 vcc, s10, v4
	ds_write_b32 v1, v5
	s_or_b64 s[8:9], vcc, s[8:9]
	v_add_u32_e32 v1, 0x100, v1
	s_andn2_b64 exec, exec, s[8:9]
	s_cbranch_execnz .LBB30_6
.LBB30_7:
	s_or_b64 exec, exec, s[0:1]
	s_load_dwordx2 s[0:1], s[4:5], 0x10
	v_lshlrev_b32_e32 v19, 6, v0
	s_waitcnt lgkmcnt(0)
	s_and_b32 s1, s1, 63
	s_and_b32 s0, s0, 63
	s_add_i32 s0, s0, s1
	s_sub_i32 s4, 64, s1
	s_sub_i32 s0, 64, s0
	s_waitcnt vmcnt(0)
	v_lshlrev_b64 v[2:3], s0, v[2:3]
	s_cmp_lg_u32 s1, 0
	v_lshrrev_b64 v[2:3], s4, v[2:3]
	s_cselect_b64 vcc, -1, 0
	v_cndmask_b32_e32 v1, 0, v2, vcc
	v_lshrrev_b32_e32 v2, 4, v1
	v_lshlrev_b32_e32 v1, 6, v1
	s_movk_i32 s0, 0x3c0
	v_and_or_b32 v1, v1, s0, v0
	v_lshlrev_b32_e32 v1, 1, v1
	v_add_lshl_u32 v1, v1, v2, 1
	ds_read_u16 v18, v1
	s_waitcnt lgkmcnt(0)
	v_add_u16_e32 v2, 1, v18
	ds_write_b16 v1, v2
	s_waitcnt lgkmcnt(0)
	; wave barrier
	s_waitcnt lgkmcnt(0)
	ds_read2_b32 v[16:17], v19 offset1:1
	ds_read2_b32 v[14:15], v19 offset0:2 offset1:3
	ds_read2_b32 v[12:13], v19 offset0:4 offset1:5
	;; [unrolled: 1-line block ×7, first 2 shown]
	s_waitcnt lgkmcnt(7)
	v_add_u32_e32 v20, v17, v16
	s_waitcnt lgkmcnt(6)
	v_add3_u32 v20, v20, v14, v15
	s_waitcnt lgkmcnt(5)
	v_add3_u32 v20, v20, v12, v13
	;; [unrolled: 2-line block ×7, first 2 shown]
	v_mbcnt_lo_u32_b32 v5, -1, 0
	v_mbcnt_hi_u32_b32 v5, -1, v5
	v_and_b32_e32 v21, 15, v5
	v_mov_b32_dpp v22, v20 row_shr:1 row_mask:0xf bank_mask:0xf
	v_cmp_ne_u32_e32 vcc, 0, v21
	v_cndmask_b32_e32 v22, 0, v22, vcc
	v_add_u32_e32 v20, v22, v20
	v_cmp_lt_u32_e32 vcc, 1, v21
	s_nop 0
	v_mov_b32_dpp v22, v20 row_shr:2 row_mask:0xf bank_mask:0xf
	v_cndmask_b32_e32 v22, 0, v22, vcc
	v_add_u32_e32 v20, v20, v22
	v_cmp_lt_u32_e32 vcc, 3, v21
	s_nop 0
	v_mov_b32_dpp v22, v20 row_shr:4 row_mask:0xf bank_mask:0xf
	;; [unrolled: 5-line block ×3, first 2 shown]
	v_cndmask_b32_e32 v21, 0, v22, vcc
	v_add_u32_e32 v20, v20, v21
	v_bfe_i32 v22, v5, 4, 1
	v_cmp_lt_u32_e32 vcc, 31, v5
	v_mov_b32_dpp v21, v20 row_bcast:15 row_mask:0xf bank_mask:0xf
	v_and_b32_e32 v21, v22, v21
	v_add_u32_e32 v20, v20, v21
	s_nop 1
	v_mov_b32_dpp v21, v20 row_bcast:31 row_mask:0xf bank_mask:0xf
	v_cndmask_b32_e32 v21, 0, v21, vcc
	v_add_u32_e32 v20, v20, v21
	v_cmp_eq_u32_e32 vcc, 63, v0
	s_and_saveexec_b64 s[0:1], vcc
	s_cbranch_execz .LBB30_9
; %bb.8:
	v_mov_b32_e32 v21, 0
	ds_write_b32 v21, v20 offset:4096
.LBB30_9:
	s_or_b64 exec, exec, s[0:1]
	v_add_u32_e32 v21, -1, v5
	v_and_b32_e32 v22, 64, v5
	v_cmp_lt_i32_e32 vcc, v21, v22
	v_cndmask_b32_e32 v21, v21, v5, vcc
	v_lshlrev_b32_e32 v21, 2, v21
	ds_bpermute_b32 v20, v21, v20
	v_mov_b32_e32 v21, 0
	s_waitcnt lgkmcnt(0)
	; wave barrier
	s_waitcnt lgkmcnt(0)
	ds_read_b32 v21, v21 offset:4096
	v_cmp_ne_u32_e32 vcc, 0, v5
	v_cndmask_b32_e32 v5, 0, v20, vcc
	s_lshl_b64 s[0:1], s[6:7], 2
	s_add_u32 s0, s2, s0
	s_waitcnt lgkmcnt(0)
	v_lshl_add_u32 v5, v21, 16, v5
	v_add_u32_e32 v16, v5, v16
	v_add_u32_e32 v17, v16, v17
	v_add_u32_e32 v14, v17, v14
	v_add_u32_e32 v15, v14, v15
	v_add_u32_e32 v12, v15, v12
	v_add_u32_e32 v13, v12, v13
	v_add_u32_e32 v10, v13, v10
	v_add_u32_e32 v11, v10, v11
	v_add_u32_e32 v8, v11, v8
	v_add_u32_e32 v9, v8, v9
	v_add_u32_e32 v6, v9, v6
	v_add_u32_e32 v7, v6, v7
	v_add_u32_e32 v2, v7, v2
	v_add_u32_e32 v3, v2, v3
	v_add_u32_e32 v4, v3, v4
	ds_write2_b32 v19, v5, v16 offset1:1
	ds_write2_b32 v19, v17, v14 offset0:2 offset1:3
	ds_write2_b32 v19, v15, v12 offset0:4 offset1:5
	ds_write2_b32 v19, v13, v10 offset0:6 offset1:7
	ds_write2_b32 v19, v11, v8 offset0:8 offset1:9
	ds_write2_b32 v19, v9, v6 offset0:10 offset1:11
	ds_write2_b32 v19, v7, v2 offset0:12 offset1:13
	ds_write2_b32 v19, v3, v4 offset0:14 offset1:15
	s_waitcnt lgkmcnt(0)
	; wave barrier
	s_waitcnt lgkmcnt(0)
	ds_read_u16 v1, v1
	s_addc_u32 s1, s3, s1
	v_lshlrev_b32_e32 v0, 2, v0
	s_waitcnt lgkmcnt(0)
	v_add_u32_sdwa v1, v1, v18 dst_sel:DWORD dst_unused:UNUSED_PAD src0_sel:DWORD src1_sel:WORD_0
	global_store_dword v0, v1, s[0:1]
	s_endpgm
	.section	.rodata,"a",@progbits
	.p2align	6, 0x0
	.amdhsa_kernel _Z11rank_kernelILj64ELj1ELj5ELb0EL18RadixRankAlgorithm1EyEvPKT4_Pijj
		.amdhsa_group_segment_fixed_size 4112
		.amdhsa_private_segment_fixed_size 0
		.amdhsa_kernarg_size 24
		.amdhsa_user_sgpr_count 6
		.amdhsa_user_sgpr_private_segment_buffer 1
		.amdhsa_user_sgpr_dispatch_ptr 0
		.amdhsa_user_sgpr_queue_ptr 0
		.amdhsa_user_sgpr_kernarg_segment_ptr 1
		.amdhsa_user_sgpr_dispatch_id 0
		.amdhsa_user_sgpr_flat_scratch_init 0
		.amdhsa_user_sgpr_kernarg_preload_length 0
		.amdhsa_user_sgpr_kernarg_preload_offset 0
		.amdhsa_user_sgpr_private_segment_size 0
		.amdhsa_uses_dynamic_stack 0
		.amdhsa_system_sgpr_private_segment_wavefront_offset 0
		.amdhsa_system_sgpr_workgroup_id_x 1
		.amdhsa_system_sgpr_workgroup_id_y 0
		.amdhsa_system_sgpr_workgroup_id_z 0
		.amdhsa_system_sgpr_workgroup_info 0
		.amdhsa_system_vgpr_workitem_id 0
		.amdhsa_next_free_vgpr 23
		.amdhsa_next_free_sgpr 11
		.amdhsa_accum_offset 24
		.amdhsa_reserve_vcc 1
		.amdhsa_reserve_flat_scratch 0
		.amdhsa_float_round_mode_32 0
		.amdhsa_float_round_mode_16_64 0
		.amdhsa_float_denorm_mode_32 3
		.amdhsa_float_denorm_mode_16_64 3
		.amdhsa_dx10_clamp 1
		.amdhsa_ieee_mode 1
		.amdhsa_fp16_overflow 0
		.amdhsa_tg_split 0
		.amdhsa_exception_fp_ieee_invalid_op 0
		.amdhsa_exception_fp_denorm_src 0
		.amdhsa_exception_fp_ieee_div_zero 0
		.amdhsa_exception_fp_ieee_overflow 0
		.amdhsa_exception_fp_ieee_underflow 0
		.amdhsa_exception_fp_ieee_inexact 0
		.amdhsa_exception_int_div_zero 0
	.end_amdhsa_kernel
	.section	.text._Z11rank_kernelILj64ELj1ELj5ELb0EL18RadixRankAlgorithm1EyEvPKT4_Pijj,"axG",@progbits,_Z11rank_kernelILj64ELj1ELj5ELb0EL18RadixRankAlgorithm1EyEvPKT4_Pijj,comdat
.Lfunc_end30:
	.size	_Z11rank_kernelILj64ELj1ELj5ELb0EL18RadixRankAlgorithm1EyEvPKT4_Pijj, .Lfunc_end30-_Z11rank_kernelILj64ELj1ELj5ELb0EL18RadixRankAlgorithm1EyEvPKT4_Pijj
                                        ; -- End function
	.section	.AMDGPU.csdata,"",@progbits
; Kernel info:
; codeLenInByte = 1004
; NumSgprs: 15
; NumVgprs: 23
; NumAgprs: 0
; TotalNumVgprs: 23
; ScratchSize: 0
; MemoryBound: 0
; FloatMode: 240
; IeeeMode: 1
; LDSByteSize: 4112 bytes/workgroup (compile time only)
; SGPRBlocks: 1
; VGPRBlocks: 2
; NumSGPRsForWavesPerEU: 15
; NumVGPRsForWavesPerEU: 23
; AccumOffset: 24
; Occupancy: 4
; WaveLimiterHint : 0
; COMPUTE_PGM_RSRC2:SCRATCH_EN: 0
; COMPUTE_PGM_RSRC2:USER_SGPR: 6
; COMPUTE_PGM_RSRC2:TRAP_HANDLER: 0
; COMPUTE_PGM_RSRC2:TGID_X_EN: 1
; COMPUTE_PGM_RSRC2:TGID_Y_EN: 0
; COMPUTE_PGM_RSRC2:TGID_Z_EN: 0
; COMPUTE_PGM_RSRC2:TIDIG_COMP_CNT: 0
; COMPUTE_PGM_RSRC3_GFX90A:ACCUM_OFFSET: 5
; COMPUTE_PGM_RSRC3_GFX90A:TG_SPLIT: 0
	.section	.text._Z11rank_kernelILj234ELj9ELj4ELb0EL18RadixRankAlgorithm1E12hip_bfloat16EvPKT4_Pijj,"axG",@progbits,_Z11rank_kernelILj234ELj9ELj4ELb0EL18RadixRankAlgorithm1E12hip_bfloat16EvPKT4_Pijj,comdat
	.protected	_Z11rank_kernelILj234ELj9ELj4ELb0EL18RadixRankAlgorithm1E12hip_bfloat16EvPKT4_Pijj ; -- Begin function _Z11rank_kernelILj234ELj9ELj4ELb0EL18RadixRankAlgorithm1E12hip_bfloat16EvPKT4_Pijj
	.globl	_Z11rank_kernelILj234ELj9ELj4ELb0EL18RadixRankAlgorithm1E12hip_bfloat16EvPKT4_Pijj
	.p2align	8
	.type	_Z11rank_kernelILj234ELj9ELj4ELb0EL18RadixRankAlgorithm1E12hip_bfloat16EvPKT4_Pijj,@function
_Z11rank_kernelILj234ELj9ELj4ELb0EL18RadixRankAlgorithm1E12hip_bfloat16EvPKT4_Pijj: ; @_Z11rank_kernelILj234ELj9ELj4ELb0EL18RadixRankAlgorithm1E12hip_bfloat16EvPKT4_Pijj
; %bb.0:
	s_load_dwordx4 s[0:3], s[4:5], 0x0
	s_mulk_i32 s6, 0x83a
	s_mov_b32 s7, 0
	s_lshl_b64 s[8:9], s[6:7], 1
	v_mul_u32_u24_e32 v6, 9, v0
	s_waitcnt lgkmcnt(0)
	s_add_u32 s0, s0, s8
	s_addc_u32 s1, s1, s9
	v_lshlrev_b32_e32 v1, 1, v6
	global_load_dwordx4 v[2:5], v1, s[0:1]
	global_load_ushort v9, v1, s[0:1] offset:16
	v_sub_u32_e32 v1, 0x665, v0
	s_mov_b32 s0, 0x1181182
	v_mul_hi_u32 v1, v1, s0
	v_add_u32_e32 v7, 3, v1
	v_add_u32_e32 v8, 1, v1
	;; [unrolled: 1-line block ×3, first 2 shown]
	v_mov_b32_e32 v12, 0
	v_and_b32_e32 v13, 30, v7
	v_mov_b32_e32 v7, v8
	s_mov_b64 s[8:9], 0
	s_mov_b32 s12, s7
	v_pk_mov_b32 v[10:11], v[0:1], v[0:1] op_sel:[0,1]
	s_branch .LBB31_2
.LBB31_1:                               ;   in Loop: Header=BB31_2 Depth=1
	s_or_b64 exec, exec, s[0:1]
	s_add_i32 s12, s12, 2
	v_cmp_eq_u32_e32 vcc, s12, v13
	v_add_u32_e32 v11, 0x1d4, v11
	s_or_b64 s[8:9], vcc, s[8:9]
	v_add_u32_e32 v10, 0x1d4, v10
	s_andn2_b64 exec, exec, s[8:9]
	s_cbranch_execz .LBB31_6
.LBB31_2:                               ; =>This Inner Loop Header: Depth=1
	s_or_b32 s0, s12, 1
	v_cmp_le_u32_e32 vcc, s0, v7
	v_cmp_le_u32_e64 s[0:1], s12, v8
	s_and_saveexec_b64 s[10:11], s[0:1]
	s_cbranch_execz .LBB31_4
; %bb.3:                                ;   in Loop: Header=BB31_2 Depth=1
	v_lshlrev_b32_e32 v1, 2, v10
	ds_write_b32 v1, v12
.LBB31_4:                               ;   in Loop: Header=BB31_2 Depth=1
	s_or_b64 exec, exec, s[10:11]
	s_and_saveexec_b64 s[0:1], vcc
	s_cbranch_execz .LBB31_1
; %bb.5:                                ;   in Loop: Header=BB31_2 Depth=1
	v_lshlrev_b32_e32 v1, 2, v11
	ds_write_b32 v1, v12
	s_branch .LBB31_1
.LBB31_6:
	s_or_b64 exec, exec, s[8:9]
	s_load_dwordx2 s[4:5], s[4:5], 0x10
	v_mov_b32_e32 v8, 0xffff8000
	s_waitcnt vmcnt(1)
	v_cmp_lt_i16_e32 vcc, -1, v2
	v_cndmask_b32_e32 v1, -1, v8, vcc
	v_xor_b32_e32 v1, v1, v2
	s_waitcnt lgkmcnt(0)
	s_and_b32 s5, s5, 31
	s_cmp_eq_u32 s5, 0
	s_cselect_b64 s[0:1], -1, 0
	s_and_b32 s4, s4, 31
	s_movk_i32 s8, 0x7fff
	s_add_i32 s4, s4, s5
	v_cmp_ne_u16_e32 vcc, s8, v1
	s_sub_i32 s4, 32, s4
	v_cndmask_b32_e32 v1, v8, v1, vcc
	s_sub_i32 s5, 32, s5
	v_lshlrev_b32_sdwa v1, s4, v1 dst_sel:DWORD dst_unused:UNUSED_PAD src0_sel:DWORD src1_sel:WORD_0
	v_bfe_u32 v1, v1, s5, 16
	v_cndmask_b32_e64 v1, v1, 0, s[0:1]
	v_and_b32_e32 v7, 7, v1
	v_mul_u32_u24_e32 v7, 0xea, v7
	v_mov_b32_e32 v10, -1
	v_lshrrev_b32_e32 v1, 3, v1
	v_add_lshl_u32 v7, v7, v0, 1
	v_cmp_gt_i16_sdwa vcc, v2, v10 src0_sel:WORD_1 src1_sel:DWORD
	v_add_lshl_u32 v7, v7, v1, 1
	v_cndmask_b32_e32 v11, -1, v8, vcc
	ds_read_u16 v1, v7
	v_xor_b32_sdwa v2, v11, v2 dst_sel:DWORD dst_unused:UNUSED_PAD src0_sel:DWORD src1_sel:WORD_1
	v_cmp_ne_u16_e32 vcc, s8, v2
	v_cndmask_b32_e32 v2, v8, v2, vcc
	v_lshlrev_b32_sdwa v2, s4, v2 dst_sel:DWORD dst_unused:UNUSED_PAD src0_sel:DWORD src1_sel:WORD_0
	v_bfe_u32 v2, v2, s5, 16
	s_waitcnt lgkmcnt(0)
	v_add_u16_e32 v11, 1, v1
	v_cndmask_b32_e64 v2, v2, 0, s[0:1]
	ds_write_b16 v7, v11
	v_and_b32_e32 v11, 7, v2
	v_mul_u32_u24_e32 v11, 0xea, v11
	v_lshrrev_b32_e32 v2, 3, v2
	v_add_lshl_u32 v11, v11, v0, 1
	v_cmp_lt_i16_e32 vcc, -1, v3
	v_add_lshl_u32 v13, v11, v2, 1
	v_cndmask_b32_e32 v2, -1, v8, vcc
	ds_read_u16 v12, v13
	v_xor_b32_e32 v2, v2, v3
	v_cmp_ne_u16_e32 vcc, s8, v2
	v_cndmask_b32_e32 v2, v8, v2, vcc
	v_lshlrev_b32_sdwa v2, s4, v2 dst_sel:DWORD dst_unused:UNUSED_PAD src0_sel:DWORD src1_sel:WORD_0
	v_bfe_u32 v2, v2, s5, 16
	s_waitcnt lgkmcnt(0)
	v_add_u16_e32 v11, 1, v12
	v_cndmask_b32_e64 v2, v2, 0, s[0:1]
	ds_write_b16 v13, v11
	v_and_b32_e32 v11, 7, v2
	v_mul_u32_u24_e32 v11, 0xea, v11
	v_lshrrev_b32_e32 v2, 3, v2
	v_add_lshl_u32 v11, v11, v0, 1
	v_cmp_gt_i16_sdwa vcc, v3, v10 src0_sel:WORD_1 src1_sel:DWORD
	v_add_lshl_u32 v15, v11, v2, 1
	v_cndmask_b32_e32 v2, -1, v8, vcc
	ds_read_u16 v14, v15
	v_xor_b32_sdwa v2, v2, v3 dst_sel:DWORD dst_unused:UNUSED_PAD src0_sel:DWORD src1_sel:WORD_1
	v_cmp_ne_u16_e32 vcc, s8, v2
	v_cndmask_b32_e32 v2, v8, v2, vcc
	v_lshlrev_b32_sdwa v2, s4, v2 dst_sel:DWORD dst_unused:UNUSED_PAD src0_sel:DWORD src1_sel:WORD_0
	v_bfe_u32 v2, v2, s5, 16
	s_waitcnt lgkmcnt(0)
	v_add_u16_e32 v3, 1, v14
	v_cndmask_b32_e64 v2, v2, 0, s[0:1]
	ds_write_b16 v15, v3
	v_and_b32_e32 v3, 7, v2
	v_mul_u32_u24_e32 v3, 0xea, v3
	v_lshrrev_b32_e32 v2, 3, v2
	v_add_lshl_u32 v3, v3, v0, 1
	v_cmp_lt_i16_e32 vcc, -1, v4
	v_add_lshl_u32 v17, v3, v2, 1
	v_cndmask_b32_e32 v2, -1, v8, vcc
	ds_read_u16 v16, v17
	v_xor_b32_e32 v2, v2, v4
	v_cmp_ne_u16_e32 vcc, s8, v2
	v_cndmask_b32_e32 v2, v8, v2, vcc
	v_lshlrev_b32_sdwa v2, s4, v2 dst_sel:DWORD dst_unused:UNUSED_PAD src0_sel:DWORD src1_sel:WORD_0
	v_bfe_u32 v2, v2, s5, 16
	s_waitcnt lgkmcnt(0)
	v_add_u16_e32 v3, 1, v16
	v_cndmask_b32_e64 v2, v2, 0, s[0:1]
	ds_write_b16 v17, v3
	v_and_b32_e32 v3, 7, v2
	v_mul_u32_u24_e32 v3, 0xea, v3
	;; [unrolled: 34-line block ×3, first 2 shown]
	v_lshrrev_b32_e32 v2, 3, v2
	v_add_lshl_u32 v3, v3, v0, 1
	v_cmp_gt_i16_sdwa vcc, v5, v10 src0_sel:WORD_1 src1_sel:DWORD
	v_add_lshl_u32 v23, v3, v2, 1
	v_cndmask_b32_e32 v2, -1, v8, vcc
	ds_read_u16 v22, v23
	v_xor_b32_sdwa v2, v2, v5 dst_sel:DWORD dst_unused:UNUSED_PAD src0_sel:DWORD src1_sel:WORD_1
	v_cmp_ne_u16_e32 vcc, s8, v2
	v_cndmask_b32_e32 v2, v8, v2, vcc
	v_lshlrev_b32_sdwa v2, s4, v2 dst_sel:DWORD dst_unused:UNUSED_PAD src0_sel:DWORD src1_sel:WORD_0
	v_bfe_u32 v2, v2, s5, 16
	s_waitcnt lgkmcnt(0)
	v_add_u16_e32 v3, 1, v22
	v_cndmask_b32_e64 v2, v2, 0, s[0:1]
	ds_write_b16 v23, v3
	v_and_b32_e32 v3, 7, v2
	v_mul_u32_u24_e32 v3, 0xea, v3
	v_lshrrev_b32_e32 v2, 3, v2
	v_add_lshl_u32 v3, v3, v0, 1
	s_waitcnt vmcnt(0)
	v_cmp_lt_i16_e32 vcc, -1, v9
	v_add_lshl_u32 v25, v3, v2, 1
	v_cndmask_b32_e32 v2, -1, v8, vcc
	ds_read_u16 v24, v25
	v_xor_b32_e32 v2, v2, v9
	v_cmp_ne_u16_e32 vcc, s8, v2
	v_cndmask_b32_e32 v2, v8, v2, vcc
	v_lshlrev_b32_sdwa v2, s4, v2 dst_sel:DWORD dst_unused:UNUSED_PAD src0_sel:DWORD src1_sel:WORD_0
	v_bfe_u32 v2, v2, s5, 16
	s_waitcnt lgkmcnt(0)
	v_add_u16_e32 v3, 1, v24
	v_cndmask_b32_e64 v2, v2, 0, s[0:1]
	ds_write_b16 v25, v3
	v_and_b32_e32 v3, 7, v2
	v_mul_u32_u24_e32 v3, 0xea, v3
	v_lshrrev_b32_e32 v2, 3, v2
	v_add_lshl_u32 v3, v3, v0, 1
	v_add_lshl_u32 v27, v3, v2, 1
	ds_read_u16 v26, v27
	v_lshlrev_b32_e32 v28, 5, v0
	s_waitcnt lgkmcnt(0)
	v_add_u16_e32 v2, 1, v26
	ds_write_b16 v27, v2
	s_waitcnt lgkmcnt(0)
	s_barrier
	ds_read2_b32 v[10:11], v28 offset1:1
	ds_read2_b32 v[8:9], v28 offset0:2 offset1:3
	ds_read2_b32 v[2:3], v28 offset0:4 offset1:5
	;; [unrolled: 1-line block ×3, first 2 shown]
	s_waitcnt lgkmcnt(3)
	v_add_u32_e32 v29, v11, v10
	s_waitcnt lgkmcnt(2)
	v_add3_u32 v29, v29, v8, v9
	s_waitcnt lgkmcnt(1)
	v_add3_u32 v29, v29, v2, v3
	;; [unrolled: 2-line block ×3, first 2 shown]
	v_mbcnt_lo_u32_b32 v5, -1, 0
	v_mbcnt_hi_u32_b32 v5, -1, v5
	v_and_b32_e32 v30, 15, v5
	v_mov_b32_dpp v31, v29 row_shr:1 row_mask:0xf bank_mask:0xf
	v_cmp_ne_u32_e32 vcc, 0, v30
	v_cndmask_b32_e32 v31, 0, v31, vcc
	v_add_u32_e32 v29, v31, v29
	v_cmp_lt_u32_e32 vcc, 1, v30
	s_nop 0
	v_mov_b32_dpp v31, v29 row_shr:2 row_mask:0xf bank_mask:0xf
	v_cndmask_b32_e32 v31, 0, v31, vcc
	v_add_u32_e32 v29, v29, v31
	v_cmp_lt_u32_e32 vcc, 3, v30
	s_nop 0
	v_mov_b32_dpp v31, v29 row_shr:4 row_mask:0xf bank_mask:0xf
	;; [unrolled: 5-line block ×3, first 2 shown]
	v_cndmask_b32_e32 v30, 0, v31, vcc
	v_add_u32_e32 v29, v29, v30
	v_bfe_i32 v31, v5, 4, 1
	v_cmp_lt_u32_e32 vcc, 31, v5
	v_mov_b32_dpp v30, v29 row_bcast:15 row_mask:0xf bank_mask:0xf
	v_and_b32_e32 v30, v31, v30
	v_add_u32_e32 v29, v29, v30
	v_and_b32_e32 v31, 0xc0, v0
	v_min_u32_e32 v31, 0xaa, v31
	v_mov_b32_dpp v30, v29 row_bcast:31 row_mask:0xf bank_mask:0xf
	v_cndmask_b32_e32 v30, 0, v30, vcc
	v_add_u32_e32 v29, v29, v30
	v_lshrrev_b32_e32 v30, 6, v0
	v_add_u32_e32 v31, 63, v31
	v_cmp_eq_u32_e32 vcc, v31, v0
	v_lshlrev_b32_e32 v30, 2, v30
	s_and_saveexec_b64 s[0:1], vcc
	s_cbranch_execz .LBB31_8
; %bb.7:
	ds_write_b32 v30, v29 offset:7488
.LBB31_8:
	s_or_b64 exec, exec, s[0:1]
	v_cmp_gt_u32_e32 vcc, 4, v0
	s_waitcnt lgkmcnt(0)
	s_barrier
	s_and_saveexec_b64 s[0:1], vcc
	s_cbranch_execz .LBB31_10
; %bb.9:
	v_lshlrev_b32_e32 v31, 2, v0
	ds_read_b32 v32, v31 offset:7488
	v_and_b32_e32 v33, 3, v5
	v_cmp_ne_u32_e32 vcc, 0, v33
	s_waitcnt lgkmcnt(0)
	v_mov_b32_dpp v34, v32 row_shr:1 row_mask:0xf bank_mask:0xf
	v_cndmask_b32_e32 v34, 0, v34, vcc
	v_add_u32_e32 v32, v34, v32
	v_cmp_lt_u32_e32 vcc, 1, v33
	s_nop 0
	v_mov_b32_dpp v34, v32 row_shr:2 row_mask:0xf bank_mask:0xf
	v_cndmask_b32_e32 v33, 0, v34, vcc
	v_add_u32_e32 v32, v32, v33
	ds_write_b32 v31, v32 offset:7488
.LBB31_10:
	s_or_b64 exec, exec, s[0:1]
	v_cmp_lt_u32_e32 vcc, 63, v0
	v_mov_b32_e32 v0, 0
	v_mov_b32_e32 v31, 0
	s_waitcnt lgkmcnt(0)
	s_barrier
	s_and_saveexec_b64 s[0:1], vcc
	s_cbranch_execz .LBB31_12
; %bb.11:
	ds_read_b32 v31, v30 offset:7484
.LBB31_12:
	s_or_b64 exec, exec, s[0:1]
	v_add_u32_e32 v30, -1, v5
	v_and_b32_e32 v32, 64, v5
	v_cmp_lt_i32_e32 vcc, v30, v32
	v_cndmask_b32_e32 v30, v30, v5, vcc
	s_waitcnt lgkmcnt(0)
	v_add_u32_e32 v29, v31, v29
	v_lshlrev_b32_e32 v30, 2, v30
	ds_bpermute_b32 v29, v30, v29
	ds_read_b32 v0, v0 offset:7500
	v_cmp_eq_u32_e32 vcc, 0, v5
	s_lshl_b64 s[0:1], s[6:7], 2
	s_add_u32 s0, s2, s0
	s_waitcnt lgkmcnt(1)
	v_cndmask_b32_e32 v5, v29, v31, vcc
	s_waitcnt lgkmcnt(0)
	v_lshl_add_u32 v0, v0, 16, v5
	v_add_u32_e32 v5, v0, v10
	v_add_u32_e32 v10, v5, v11
	;; [unrolled: 1-line block ×7, first 2 shown]
	ds_write2_b32 v28, v0, v5 offset1:1
	ds_write2_b32 v28, v10, v8 offset0:2 offset1:3
	ds_write2_b32 v28, v9, v2 offset0:4 offset1:5
	;; [unrolled: 1-line block ×3, first 2 shown]
	s_waitcnt lgkmcnt(0)
	s_barrier
	ds_read_u16 v0, v7
	ds_read_u16 v2, v13
	;; [unrolled: 1-line block ×8, first 2 shown]
	s_waitcnt lgkmcnt(7)
	v_add_u32_sdwa v0, v0, v1 dst_sel:DWORD dst_unused:UNUSED_PAD src0_sel:DWORD src1_sel:WORD_0
	s_waitcnt lgkmcnt(6)
	v_add_u32_sdwa v1, v2, v12 dst_sel:DWORD dst_unused:UNUSED_PAD src0_sel:DWORD src1_sel:WORD_0
	;; [unrolled: 2-line block ×4, first 2 shown]
	ds_read_u16 v4, v27
	s_waitcnt lgkmcnt(4)
	v_add_u32_sdwa v8, v5, v18 dst_sel:DWORD dst_unused:UNUSED_PAD src0_sel:DWORD src1_sel:WORD_0
	s_addc_u32 s1, s3, s1
	v_lshlrev_b32_e32 v5, 2, v6
	s_waitcnt lgkmcnt(3)
	v_add_u32_sdwa v9, v7, v20 dst_sel:DWORD dst_unused:UNUSED_PAD src0_sel:DWORD src1_sel:WORD_0
	s_waitcnt lgkmcnt(2)
	v_add_u32_sdwa v10, v10, v22 dst_sel:DWORD dst_unused:UNUSED_PAD src0_sel:DWORD src1_sel:WORD_0
	s_waitcnt lgkmcnt(1)
	v_add_u32_sdwa v11, v11, v24 dst_sel:DWORD dst_unused:UNUSED_PAD src0_sel:DWORD src1_sel:WORD_0
	s_waitcnt lgkmcnt(0)
	v_add_u32_sdwa v4, v4, v26 dst_sel:DWORD dst_unused:UNUSED_PAD src0_sel:DWORD src1_sel:WORD_0
	global_store_dwordx4 v5, v[0:3], s[0:1]
	global_store_dwordx4 v5, v[8:11], s[0:1] offset:16
	global_store_dword v5, v4, s[0:1] offset:32
	s_endpgm
	.section	.rodata,"a",@progbits
	.p2align	6, 0x0
	.amdhsa_kernel _Z11rank_kernelILj234ELj9ELj4ELb0EL18RadixRankAlgorithm1E12hip_bfloat16EvPKT4_Pijj
		.amdhsa_group_segment_fixed_size 8432
		.amdhsa_private_segment_fixed_size 0
		.amdhsa_kernarg_size 24
		.amdhsa_user_sgpr_count 6
		.amdhsa_user_sgpr_private_segment_buffer 1
		.amdhsa_user_sgpr_dispatch_ptr 0
		.amdhsa_user_sgpr_queue_ptr 0
		.amdhsa_user_sgpr_kernarg_segment_ptr 1
		.amdhsa_user_sgpr_dispatch_id 0
		.amdhsa_user_sgpr_flat_scratch_init 0
		.amdhsa_user_sgpr_kernarg_preload_length 0
		.amdhsa_user_sgpr_kernarg_preload_offset 0
		.amdhsa_user_sgpr_private_segment_size 0
		.amdhsa_uses_dynamic_stack 0
		.amdhsa_system_sgpr_private_segment_wavefront_offset 0
		.amdhsa_system_sgpr_workgroup_id_x 1
		.amdhsa_system_sgpr_workgroup_id_y 0
		.amdhsa_system_sgpr_workgroup_id_z 0
		.amdhsa_system_sgpr_workgroup_info 0
		.amdhsa_system_vgpr_workitem_id 0
		.amdhsa_next_free_vgpr 35
		.amdhsa_next_free_sgpr 13
		.amdhsa_accum_offset 36
		.amdhsa_reserve_vcc 1
		.amdhsa_reserve_flat_scratch 0
		.amdhsa_float_round_mode_32 0
		.amdhsa_float_round_mode_16_64 0
		.amdhsa_float_denorm_mode_32 3
		.amdhsa_float_denorm_mode_16_64 3
		.amdhsa_dx10_clamp 1
		.amdhsa_ieee_mode 1
		.amdhsa_fp16_overflow 0
		.amdhsa_tg_split 0
		.amdhsa_exception_fp_ieee_invalid_op 0
		.amdhsa_exception_fp_denorm_src 0
		.amdhsa_exception_fp_ieee_div_zero 0
		.amdhsa_exception_fp_ieee_overflow 0
		.amdhsa_exception_fp_ieee_underflow 0
		.amdhsa_exception_fp_ieee_inexact 0
		.amdhsa_exception_int_div_zero 0
	.end_amdhsa_kernel
	.section	.text._Z11rank_kernelILj234ELj9ELj4ELb0EL18RadixRankAlgorithm1E12hip_bfloat16EvPKT4_Pijj,"axG",@progbits,_Z11rank_kernelILj234ELj9ELj4ELb0EL18RadixRankAlgorithm1E12hip_bfloat16EvPKT4_Pijj,comdat
.Lfunc_end31:
	.size	_Z11rank_kernelILj234ELj9ELj4ELb0EL18RadixRankAlgorithm1E12hip_bfloat16EvPKT4_Pijj, .Lfunc_end31-_Z11rank_kernelILj234ELj9ELj4ELb0EL18RadixRankAlgorithm1E12hip_bfloat16EvPKT4_Pijj
                                        ; -- End function
	.section	.AMDGPU.csdata,"",@progbits
; Kernel info:
; codeLenInByte = 2024
; NumSgprs: 17
; NumVgprs: 35
; NumAgprs: 0
; TotalNumVgprs: 35
; ScratchSize: 0
; MemoryBound: 0
; FloatMode: 240
; IeeeMode: 1
; LDSByteSize: 8432 bytes/workgroup (compile time only)
; SGPRBlocks: 2
; VGPRBlocks: 4
; NumSGPRsForWavesPerEU: 17
; NumVGPRsForWavesPerEU: 35
; AccumOffset: 36
; Occupancy: 7
; WaveLimiterHint : 0
; COMPUTE_PGM_RSRC2:SCRATCH_EN: 0
; COMPUTE_PGM_RSRC2:USER_SGPR: 6
; COMPUTE_PGM_RSRC2:TRAP_HANDLER: 0
; COMPUTE_PGM_RSRC2:TGID_X_EN: 1
; COMPUTE_PGM_RSRC2:TGID_Y_EN: 0
; COMPUTE_PGM_RSRC2:TGID_Z_EN: 0
; COMPUTE_PGM_RSRC2:TIDIG_COMP_CNT: 0
; COMPUTE_PGM_RSRC3_GFX90A:ACCUM_OFFSET: 8
; COMPUTE_PGM_RSRC3_GFX90A:TG_SPLIT: 0
	.section	.text._Z11rank_kernelILj234ELj9ELj4ELb0EL18RadixRankAlgorithm1E6__halfEvPKT4_Pijj,"axG",@progbits,_Z11rank_kernelILj234ELj9ELj4ELb0EL18RadixRankAlgorithm1E6__halfEvPKT4_Pijj,comdat
	.protected	_Z11rank_kernelILj234ELj9ELj4ELb0EL18RadixRankAlgorithm1E6__halfEvPKT4_Pijj ; -- Begin function _Z11rank_kernelILj234ELj9ELj4ELb0EL18RadixRankAlgorithm1E6__halfEvPKT4_Pijj
	.globl	_Z11rank_kernelILj234ELj9ELj4ELb0EL18RadixRankAlgorithm1E6__halfEvPKT4_Pijj
	.p2align	8
	.type	_Z11rank_kernelILj234ELj9ELj4ELb0EL18RadixRankAlgorithm1E6__halfEvPKT4_Pijj,@function
_Z11rank_kernelILj234ELj9ELj4ELb0EL18RadixRankAlgorithm1E6__halfEvPKT4_Pijj: ; @_Z11rank_kernelILj234ELj9ELj4ELb0EL18RadixRankAlgorithm1E6__halfEvPKT4_Pijj
; %bb.0:
	s_load_dwordx4 s[0:3], s[4:5], 0x0
	s_mulk_i32 s6, 0x83a
	s_mov_b32 s7, 0
	s_lshl_b64 s[8:9], s[6:7], 1
	v_mul_u32_u24_e32 v6, 9, v0
	s_waitcnt lgkmcnt(0)
	s_add_u32 s0, s0, s8
	s_addc_u32 s1, s1, s9
	v_lshlrev_b32_e32 v1, 1, v6
	global_load_dwordx4 v[2:5], v1, s[0:1]
	global_load_ushort v9, v1, s[0:1] offset:16
	v_sub_u32_e32 v1, 0x665, v0
	s_mov_b32 s0, 0x1181182
	v_mul_hi_u32 v1, v1, s0
	v_add_u32_e32 v7, 3, v1
	v_add_u32_e32 v8, 1, v1
	;; [unrolled: 1-line block ×3, first 2 shown]
	v_mov_b32_e32 v12, 0
	v_and_b32_e32 v13, 30, v7
	v_mov_b32_e32 v7, v8
	s_mov_b64 s[8:9], 0
	s_mov_b32 s12, s7
	v_pk_mov_b32 v[10:11], v[0:1], v[0:1] op_sel:[0,1]
	s_branch .LBB32_2
.LBB32_1:                               ;   in Loop: Header=BB32_2 Depth=1
	s_or_b64 exec, exec, s[0:1]
	s_add_i32 s12, s12, 2
	v_cmp_eq_u32_e32 vcc, s12, v13
	v_add_u32_e32 v11, 0x1d4, v11
	s_or_b64 s[8:9], vcc, s[8:9]
	v_add_u32_e32 v10, 0x1d4, v10
	s_andn2_b64 exec, exec, s[8:9]
	s_cbranch_execz .LBB32_6
.LBB32_2:                               ; =>This Inner Loop Header: Depth=1
	s_or_b32 s0, s12, 1
	v_cmp_le_u32_e32 vcc, s0, v7
	v_cmp_le_u32_e64 s[0:1], s12, v8
	s_and_saveexec_b64 s[10:11], s[0:1]
	s_cbranch_execz .LBB32_4
; %bb.3:                                ;   in Loop: Header=BB32_2 Depth=1
	v_lshlrev_b32_e32 v1, 2, v10
	ds_write_b32 v1, v12
.LBB32_4:                               ;   in Loop: Header=BB32_2 Depth=1
	s_or_b64 exec, exec, s[10:11]
	s_and_saveexec_b64 s[0:1], vcc
	s_cbranch_execz .LBB32_1
; %bb.5:                                ;   in Loop: Header=BB32_2 Depth=1
	v_lshlrev_b32_e32 v1, 2, v11
	ds_write_b32 v1, v12
	s_branch .LBB32_1
.LBB32_6:
	s_or_b64 exec, exec, s[8:9]
	s_load_dwordx2 s[4:5], s[4:5], 0x10
	v_mov_b32_e32 v8, 0xffff8000
	s_waitcnt vmcnt(1)
	v_cmp_lt_i16_e32 vcc, -1, v2
	v_cndmask_b32_e32 v1, -1, v8, vcc
	v_xor_b32_e32 v1, v1, v2
	s_waitcnt lgkmcnt(0)
	s_and_b32 s5, s5, 31
	s_cmp_eq_u32 s5, 0
	s_cselect_b64 s[0:1], -1, 0
	s_and_b32 s4, s4, 31
	s_movk_i32 s8, 0x7fff
	s_add_i32 s4, s4, s5
	v_cmp_ne_u16_e32 vcc, s8, v1
	s_sub_i32 s4, 32, s4
	v_cndmask_b32_e32 v1, v8, v1, vcc
	s_sub_i32 s5, 32, s5
	v_lshlrev_b32_sdwa v1, s4, v1 dst_sel:DWORD dst_unused:UNUSED_PAD src0_sel:DWORD src1_sel:WORD_0
	v_bfe_u32 v1, v1, s5, 16
	v_cndmask_b32_e64 v1, v1, 0, s[0:1]
	v_and_b32_e32 v7, 7, v1
	v_mul_u32_u24_e32 v7, 0xea, v7
	v_mov_b32_e32 v10, -1
	v_lshrrev_b32_e32 v1, 3, v1
	v_add_lshl_u32 v7, v7, v0, 1
	v_cmp_gt_i16_sdwa vcc, v2, v10 src0_sel:WORD_1 src1_sel:DWORD
	v_add_lshl_u32 v7, v7, v1, 1
	v_cndmask_b32_e32 v11, -1, v8, vcc
	ds_read_u16 v1, v7
	v_xor_b32_sdwa v2, v11, v2 dst_sel:DWORD dst_unused:UNUSED_PAD src0_sel:DWORD src1_sel:WORD_1
	v_cmp_ne_u16_e32 vcc, s8, v2
	v_cndmask_b32_e32 v2, v8, v2, vcc
	v_lshlrev_b32_sdwa v2, s4, v2 dst_sel:DWORD dst_unused:UNUSED_PAD src0_sel:DWORD src1_sel:WORD_0
	v_bfe_u32 v2, v2, s5, 16
	s_waitcnt lgkmcnt(0)
	v_add_u16_e32 v11, 1, v1
	v_cndmask_b32_e64 v2, v2, 0, s[0:1]
	ds_write_b16 v7, v11
	v_and_b32_e32 v11, 7, v2
	v_mul_u32_u24_e32 v11, 0xea, v11
	v_lshrrev_b32_e32 v2, 3, v2
	v_add_lshl_u32 v11, v11, v0, 1
	v_cmp_lt_i16_e32 vcc, -1, v3
	v_add_lshl_u32 v13, v11, v2, 1
	v_cndmask_b32_e32 v2, -1, v8, vcc
	ds_read_u16 v12, v13
	v_xor_b32_e32 v2, v2, v3
	v_cmp_ne_u16_e32 vcc, s8, v2
	v_cndmask_b32_e32 v2, v8, v2, vcc
	v_lshlrev_b32_sdwa v2, s4, v2 dst_sel:DWORD dst_unused:UNUSED_PAD src0_sel:DWORD src1_sel:WORD_0
	v_bfe_u32 v2, v2, s5, 16
	s_waitcnt lgkmcnt(0)
	v_add_u16_e32 v11, 1, v12
	v_cndmask_b32_e64 v2, v2, 0, s[0:1]
	ds_write_b16 v13, v11
	v_and_b32_e32 v11, 7, v2
	v_mul_u32_u24_e32 v11, 0xea, v11
	v_lshrrev_b32_e32 v2, 3, v2
	v_add_lshl_u32 v11, v11, v0, 1
	v_cmp_gt_i16_sdwa vcc, v3, v10 src0_sel:WORD_1 src1_sel:DWORD
	v_add_lshl_u32 v15, v11, v2, 1
	v_cndmask_b32_e32 v2, -1, v8, vcc
	ds_read_u16 v14, v15
	v_xor_b32_sdwa v2, v2, v3 dst_sel:DWORD dst_unused:UNUSED_PAD src0_sel:DWORD src1_sel:WORD_1
	v_cmp_ne_u16_e32 vcc, s8, v2
	v_cndmask_b32_e32 v2, v8, v2, vcc
	v_lshlrev_b32_sdwa v2, s4, v2 dst_sel:DWORD dst_unused:UNUSED_PAD src0_sel:DWORD src1_sel:WORD_0
	v_bfe_u32 v2, v2, s5, 16
	s_waitcnt lgkmcnt(0)
	v_add_u16_e32 v3, 1, v14
	v_cndmask_b32_e64 v2, v2, 0, s[0:1]
	ds_write_b16 v15, v3
	v_and_b32_e32 v3, 7, v2
	v_mul_u32_u24_e32 v3, 0xea, v3
	v_lshrrev_b32_e32 v2, 3, v2
	v_add_lshl_u32 v3, v3, v0, 1
	v_cmp_lt_i16_e32 vcc, -1, v4
	v_add_lshl_u32 v17, v3, v2, 1
	v_cndmask_b32_e32 v2, -1, v8, vcc
	ds_read_u16 v16, v17
	v_xor_b32_e32 v2, v2, v4
	v_cmp_ne_u16_e32 vcc, s8, v2
	v_cndmask_b32_e32 v2, v8, v2, vcc
	v_lshlrev_b32_sdwa v2, s4, v2 dst_sel:DWORD dst_unused:UNUSED_PAD src0_sel:DWORD src1_sel:WORD_0
	v_bfe_u32 v2, v2, s5, 16
	s_waitcnt lgkmcnt(0)
	v_add_u16_e32 v3, 1, v16
	v_cndmask_b32_e64 v2, v2, 0, s[0:1]
	ds_write_b16 v17, v3
	v_and_b32_e32 v3, 7, v2
	v_mul_u32_u24_e32 v3, 0xea, v3
	;; [unrolled: 34-line block ×3, first 2 shown]
	v_lshrrev_b32_e32 v2, 3, v2
	v_add_lshl_u32 v3, v3, v0, 1
	v_cmp_gt_i16_sdwa vcc, v5, v10 src0_sel:WORD_1 src1_sel:DWORD
	v_add_lshl_u32 v23, v3, v2, 1
	v_cndmask_b32_e32 v2, -1, v8, vcc
	ds_read_u16 v22, v23
	v_xor_b32_sdwa v2, v2, v5 dst_sel:DWORD dst_unused:UNUSED_PAD src0_sel:DWORD src1_sel:WORD_1
	v_cmp_ne_u16_e32 vcc, s8, v2
	v_cndmask_b32_e32 v2, v8, v2, vcc
	v_lshlrev_b32_sdwa v2, s4, v2 dst_sel:DWORD dst_unused:UNUSED_PAD src0_sel:DWORD src1_sel:WORD_0
	v_bfe_u32 v2, v2, s5, 16
	s_waitcnt lgkmcnt(0)
	v_add_u16_e32 v3, 1, v22
	v_cndmask_b32_e64 v2, v2, 0, s[0:1]
	ds_write_b16 v23, v3
	v_and_b32_e32 v3, 7, v2
	v_mul_u32_u24_e32 v3, 0xea, v3
	v_lshrrev_b32_e32 v2, 3, v2
	v_add_lshl_u32 v3, v3, v0, 1
	s_waitcnt vmcnt(0)
	v_cmp_lt_i16_e32 vcc, -1, v9
	v_add_lshl_u32 v25, v3, v2, 1
	v_cndmask_b32_e32 v2, -1, v8, vcc
	ds_read_u16 v24, v25
	v_xor_b32_e32 v2, v2, v9
	v_cmp_ne_u16_e32 vcc, s8, v2
	v_cndmask_b32_e32 v2, v8, v2, vcc
	v_lshlrev_b32_sdwa v2, s4, v2 dst_sel:DWORD dst_unused:UNUSED_PAD src0_sel:DWORD src1_sel:WORD_0
	v_bfe_u32 v2, v2, s5, 16
	s_waitcnt lgkmcnt(0)
	v_add_u16_e32 v3, 1, v24
	v_cndmask_b32_e64 v2, v2, 0, s[0:1]
	ds_write_b16 v25, v3
	v_and_b32_e32 v3, 7, v2
	v_mul_u32_u24_e32 v3, 0xea, v3
	v_lshrrev_b32_e32 v2, 3, v2
	v_add_lshl_u32 v3, v3, v0, 1
	v_add_lshl_u32 v27, v3, v2, 1
	ds_read_u16 v26, v27
	v_lshlrev_b32_e32 v28, 5, v0
	s_waitcnt lgkmcnt(0)
	v_add_u16_e32 v2, 1, v26
	ds_write_b16 v27, v2
	s_waitcnt lgkmcnt(0)
	s_barrier
	ds_read2_b32 v[10:11], v28 offset1:1
	ds_read2_b32 v[8:9], v28 offset0:2 offset1:3
	ds_read2_b32 v[2:3], v28 offset0:4 offset1:5
	;; [unrolled: 1-line block ×3, first 2 shown]
	s_waitcnt lgkmcnt(3)
	v_add_u32_e32 v29, v11, v10
	s_waitcnt lgkmcnt(2)
	v_add3_u32 v29, v29, v8, v9
	s_waitcnt lgkmcnt(1)
	v_add3_u32 v29, v29, v2, v3
	;; [unrolled: 2-line block ×3, first 2 shown]
	v_mbcnt_lo_u32_b32 v5, -1, 0
	v_mbcnt_hi_u32_b32 v5, -1, v5
	v_and_b32_e32 v30, 15, v5
	v_mov_b32_dpp v31, v29 row_shr:1 row_mask:0xf bank_mask:0xf
	v_cmp_ne_u32_e32 vcc, 0, v30
	v_cndmask_b32_e32 v31, 0, v31, vcc
	v_add_u32_e32 v29, v31, v29
	v_cmp_lt_u32_e32 vcc, 1, v30
	s_nop 0
	v_mov_b32_dpp v31, v29 row_shr:2 row_mask:0xf bank_mask:0xf
	v_cndmask_b32_e32 v31, 0, v31, vcc
	v_add_u32_e32 v29, v29, v31
	v_cmp_lt_u32_e32 vcc, 3, v30
	s_nop 0
	v_mov_b32_dpp v31, v29 row_shr:4 row_mask:0xf bank_mask:0xf
	;; [unrolled: 5-line block ×3, first 2 shown]
	v_cndmask_b32_e32 v30, 0, v31, vcc
	v_add_u32_e32 v29, v29, v30
	v_bfe_i32 v31, v5, 4, 1
	v_cmp_lt_u32_e32 vcc, 31, v5
	v_mov_b32_dpp v30, v29 row_bcast:15 row_mask:0xf bank_mask:0xf
	v_and_b32_e32 v30, v31, v30
	v_add_u32_e32 v29, v29, v30
	v_and_b32_e32 v31, 0xc0, v0
	v_min_u32_e32 v31, 0xaa, v31
	v_mov_b32_dpp v30, v29 row_bcast:31 row_mask:0xf bank_mask:0xf
	v_cndmask_b32_e32 v30, 0, v30, vcc
	v_add_u32_e32 v29, v29, v30
	v_lshrrev_b32_e32 v30, 6, v0
	v_add_u32_e32 v31, 63, v31
	v_cmp_eq_u32_e32 vcc, v31, v0
	v_lshlrev_b32_e32 v30, 2, v30
	s_and_saveexec_b64 s[0:1], vcc
	s_cbranch_execz .LBB32_8
; %bb.7:
	ds_write_b32 v30, v29 offset:7488
.LBB32_8:
	s_or_b64 exec, exec, s[0:1]
	v_cmp_gt_u32_e32 vcc, 4, v0
	s_waitcnt lgkmcnt(0)
	s_barrier
	s_and_saveexec_b64 s[0:1], vcc
	s_cbranch_execz .LBB32_10
; %bb.9:
	v_lshlrev_b32_e32 v31, 2, v0
	ds_read_b32 v32, v31 offset:7488
	v_and_b32_e32 v33, 3, v5
	v_cmp_ne_u32_e32 vcc, 0, v33
	s_waitcnt lgkmcnt(0)
	v_mov_b32_dpp v34, v32 row_shr:1 row_mask:0xf bank_mask:0xf
	v_cndmask_b32_e32 v34, 0, v34, vcc
	v_add_u32_e32 v32, v34, v32
	v_cmp_lt_u32_e32 vcc, 1, v33
	s_nop 0
	v_mov_b32_dpp v34, v32 row_shr:2 row_mask:0xf bank_mask:0xf
	v_cndmask_b32_e32 v33, 0, v34, vcc
	v_add_u32_e32 v32, v32, v33
	ds_write_b32 v31, v32 offset:7488
.LBB32_10:
	s_or_b64 exec, exec, s[0:1]
	v_cmp_lt_u32_e32 vcc, 63, v0
	v_mov_b32_e32 v0, 0
	v_mov_b32_e32 v31, 0
	s_waitcnt lgkmcnt(0)
	s_barrier
	s_and_saveexec_b64 s[0:1], vcc
	s_cbranch_execz .LBB32_12
; %bb.11:
	ds_read_b32 v31, v30 offset:7484
.LBB32_12:
	s_or_b64 exec, exec, s[0:1]
	v_add_u32_e32 v30, -1, v5
	v_and_b32_e32 v32, 64, v5
	v_cmp_lt_i32_e32 vcc, v30, v32
	v_cndmask_b32_e32 v30, v30, v5, vcc
	s_waitcnt lgkmcnt(0)
	v_add_u32_e32 v29, v31, v29
	v_lshlrev_b32_e32 v30, 2, v30
	ds_bpermute_b32 v29, v30, v29
	ds_read_b32 v0, v0 offset:7500
	v_cmp_eq_u32_e32 vcc, 0, v5
	s_lshl_b64 s[0:1], s[6:7], 2
	s_add_u32 s0, s2, s0
	s_waitcnt lgkmcnt(1)
	v_cndmask_b32_e32 v5, v29, v31, vcc
	s_waitcnt lgkmcnt(0)
	v_lshl_add_u32 v0, v0, 16, v5
	v_add_u32_e32 v5, v0, v10
	v_add_u32_e32 v10, v5, v11
	;; [unrolled: 1-line block ×7, first 2 shown]
	ds_write2_b32 v28, v0, v5 offset1:1
	ds_write2_b32 v28, v10, v8 offset0:2 offset1:3
	ds_write2_b32 v28, v9, v2 offset0:4 offset1:5
	;; [unrolled: 1-line block ×3, first 2 shown]
	s_waitcnt lgkmcnt(0)
	s_barrier
	ds_read_u16 v0, v7
	ds_read_u16 v2, v13
	;; [unrolled: 1-line block ×8, first 2 shown]
	s_waitcnt lgkmcnt(7)
	v_add_u32_sdwa v0, v0, v1 dst_sel:DWORD dst_unused:UNUSED_PAD src0_sel:DWORD src1_sel:WORD_0
	s_waitcnt lgkmcnt(6)
	v_add_u32_sdwa v1, v2, v12 dst_sel:DWORD dst_unused:UNUSED_PAD src0_sel:DWORD src1_sel:WORD_0
	;; [unrolled: 2-line block ×4, first 2 shown]
	ds_read_u16 v4, v27
	s_waitcnt lgkmcnt(4)
	v_add_u32_sdwa v8, v5, v18 dst_sel:DWORD dst_unused:UNUSED_PAD src0_sel:DWORD src1_sel:WORD_0
	s_addc_u32 s1, s3, s1
	v_lshlrev_b32_e32 v5, 2, v6
	s_waitcnt lgkmcnt(3)
	v_add_u32_sdwa v9, v7, v20 dst_sel:DWORD dst_unused:UNUSED_PAD src0_sel:DWORD src1_sel:WORD_0
	s_waitcnt lgkmcnt(2)
	v_add_u32_sdwa v10, v10, v22 dst_sel:DWORD dst_unused:UNUSED_PAD src0_sel:DWORD src1_sel:WORD_0
	;; [unrolled: 2-line block ×4, first 2 shown]
	global_store_dwordx4 v5, v[0:3], s[0:1]
	global_store_dwordx4 v5, v[8:11], s[0:1] offset:16
	global_store_dword v5, v4, s[0:1] offset:32
	s_endpgm
	.section	.rodata,"a",@progbits
	.p2align	6, 0x0
	.amdhsa_kernel _Z11rank_kernelILj234ELj9ELj4ELb0EL18RadixRankAlgorithm1E6__halfEvPKT4_Pijj
		.amdhsa_group_segment_fixed_size 8432
		.amdhsa_private_segment_fixed_size 0
		.amdhsa_kernarg_size 24
		.amdhsa_user_sgpr_count 6
		.amdhsa_user_sgpr_private_segment_buffer 1
		.amdhsa_user_sgpr_dispatch_ptr 0
		.amdhsa_user_sgpr_queue_ptr 0
		.amdhsa_user_sgpr_kernarg_segment_ptr 1
		.amdhsa_user_sgpr_dispatch_id 0
		.amdhsa_user_sgpr_flat_scratch_init 0
		.amdhsa_user_sgpr_kernarg_preload_length 0
		.amdhsa_user_sgpr_kernarg_preload_offset 0
		.amdhsa_user_sgpr_private_segment_size 0
		.amdhsa_uses_dynamic_stack 0
		.amdhsa_system_sgpr_private_segment_wavefront_offset 0
		.amdhsa_system_sgpr_workgroup_id_x 1
		.amdhsa_system_sgpr_workgroup_id_y 0
		.amdhsa_system_sgpr_workgroup_id_z 0
		.amdhsa_system_sgpr_workgroup_info 0
		.amdhsa_system_vgpr_workitem_id 0
		.amdhsa_next_free_vgpr 35
		.amdhsa_next_free_sgpr 13
		.amdhsa_accum_offset 36
		.amdhsa_reserve_vcc 1
		.amdhsa_reserve_flat_scratch 0
		.amdhsa_float_round_mode_32 0
		.amdhsa_float_round_mode_16_64 0
		.amdhsa_float_denorm_mode_32 3
		.amdhsa_float_denorm_mode_16_64 3
		.amdhsa_dx10_clamp 1
		.amdhsa_ieee_mode 1
		.amdhsa_fp16_overflow 0
		.amdhsa_tg_split 0
		.amdhsa_exception_fp_ieee_invalid_op 0
		.amdhsa_exception_fp_denorm_src 0
		.amdhsa_exception_fp_ieee_div_zero 0
		.amdhsa_exception_fp_ieee_overflow 0
		.amdhsa_exception_fp_ieee_underflow 0
		.amdhsa_exception_fp_ieee_inexact 0
		.amdhsa_exception_int_div_zero 0
	.end_amdhsa_kernel
	.section	.text._Z11rank_kernelILj234ELj9ELj4ELb0EL18RadixRankAlgorithm1E6__halfEvPKT4_Pijj,"axG",@progbits,_Z11rank_kernelILj234ELj9ELj4ELb0EL18RadixRankAlgorithm1E6__halfEvPKT4_Pijj,comdat
.Lfunc_end32:
	.size	_Z11rank_kernelILj234ELj9ELj4ELb0EL18RadixRankAlgorithm1E6__halfEvPKT4_Pijj, .Lfunc_end32-_Z11rank_kernelILj234ELj9ELj4ELb0EL18RadixRankAlgorithm1E6__halfEvPKT4_Pijj
                                        ; -- End function
	.section	.AMDGPU.csdata,"",@progbits
; Kernel info:
; codeLenInByte = 2024
; NumSgprs: 17
; NumVgprs: 35
; NumAgprs: 0
; TotalNumVgprs: 35
; ScratchSize: 0
; MemoryBound: 0
; FloatMode: 240
; IeeeMode: 1
; LDSByteSize: 8432 bytes/workgroup (compile time only)
; SGPRBlocks: 2
; VGPRBlocks: 4
; NumSGPRsForWavesPerEU: 17
; NumVGPRsForWavesPerEU: 35
; AccumOffset: 36
; Occupancy: 7
; WaveLimiterHint : 0
; COMPUTE_PGM_RSRC2:SCRATCH_EN: 0
; COMPUTE_PGM_RSRC2:USER_SGPR: 6
; COMPUTE_PGM_RSRC2:TRAP_HANDLER: 0
; COMPUTE_PGM_RSRC2:TGID_X_EN: 1
; COMPUTE_PGM_RSRC2:TGID_Y_EN: 0
; COMPUTE_PGM_RSRC2:TGID_Z_EN: 0
; COMPUTE_PGM_RSRC2:TIDIG_COMP_CNT: 0
; COMPUTE_PGM_RSRC3_GFX90A:ACCUM_OFFSET: 8
; COMPUTE_PGM_RSRC3_GFX90A:TG_SPLIT: 0
	.section	.text._Z11rank_kernelILj100ELj3ELj4ELb0EL18RadixRankAlgorithm1EtEvPKT4_Pijj,"axG",@progbits,_Z11rank_kernelILj100ELj3ELj4ELb0EL18RadixRankAlgorithm1EtEvPKT4_Pijj,comdat
	.protected	_Z11rank_kernelILj100ELj3ELj4ELb0EL18RadixRankAlgorithm1EtEvPKT4_Pijj ; -- Begin function _Z11rank_kernelILj100ELj3ELj4ELb0EL18RadixRankAlgorithm1EtEvPKT4_Pijj
	.globl	_Z11rank_kernelILj100ELj3ELj4ELb0EL18RadixRankAlgorithm1EtEvPKT4_Pijj
	.p2align	8
	.type	_Z11rank_kernelILj100ELj3ELj4ELb0EL18RadixRankAlgorithm1EtEvPKT4_Pijj,@function
_Z11rank_kernelILj100ELj3ELj4ELb0EL18RadixRankAlgorithm1EtEvPKT4_Pijj: ; @_Z11rank_kernelILj100ELj3ELj4ELb0EL18RadixRankAlgorithm1EtEvPKT4_Pijj
; %bb.0:
	s_load_dwordx4 s[0:3], s[4:5], 0x0
	s_mulk_i32 s6, 0x12c
	s_mov_b32 s7, 0
	s_lshl_b64 s[8:9], s[6:7], 1
	v_mul_u32_u24_e32 v10, 3, v0
	s_waitcnt lgkmcnt(0)
	s_add_u32 s0, s0, s8
	s_addc_u32 s1, s1, s9
	v_lshlrev_b32_e32 v1, 1, v10
	global_load_dword v7, v1, s[0:1]
	global_load_ushort v6, v1, s[0:1] offset:4
	s_movk_i32 s0, 0x320
	v_cmp_gt_u32_e32 vcc, s0, v0
	s_and_saveexec_b64 s[8:9], vcc
	s_cbranch_execz .LBB33_7
; %bb.1:
	s_movk_i32 s0, 0x2bc
	v_mov_b32_e32 v1, 0x2bc
	v_cmp_gt_u32_e32 vcc, s0, v0
	v_subb_co_u32_e64 v1, s[0:1], v1, v0, vcc
	s_mov_b32 s0, 0x28f5c29
	v_mul_hi_u32 v1, v1, s0
	v_addc_co_u32_e64 v2, s[0:1], 0, v1, vcc
	v_addc_co_u32_e32 v1, vcc, 2, v1, vcc
	v_and_b32_e32 v8, 14, v1
	v_add_u32_e32 v1, 0x64, v0
	v_mov_b32_e32 v3, v2
	s_mov_b64 s[10:11], 0
	v_mov_b32_e32 v9, 0
	s_mov_b32 s14, s7
	v_pk_mov_b32 v[4:5], v[0:1], v[0:1] op_sel:[0,1]
	s_branch .LBB33_3
.LBB33_2:                               ;   in Loop: Header=BB33_3 Depth=1
	s_or_b64 exec, exec, s[0:1]
	s_add_i32 s14, s14, 2
	v_cmp_eq_u32_e32 vcc, s14, v8
	v_add_u32_e32 v5, 0xc8, v5
	s_or_b64 s[10:11], vcc, s[10:11]
	v_add_u32_e32 v4, 0xc8, v4
	s_andn2_b64 exec, exec, s[10:11]
	s_cbranch_execz .LBB33_7
.LBB33_3:                               ; =>This Inner Loop Header: Depth=1
	s_or_b32 s0, s14, 1
	v_cmp_le_u32_e32 vcc, s0, v3
	v_cmp_le_u32_e64 s[0:1], s14, v2
	s_and_saveexec_b64 s[12:13], s[0:1]
	s_cbranch_execz .LBB33_5
; %bb.4:                                ;   in Loop: Header=BB33_3 Depth=1
	v_lshlrev_b32_e32 v1, 2, v4
	ds_write_b32 v1, v9
.LBB33_5:                               ;   in Loop: Header=BB33_3 Depth=1
	s_or_b64 exec, exec, s[12:13]
	s_and_saveexec_b64 s[0:1], vcc
	s_cbranch_execz .LBB33_2
; %bb.6:                                ;   in Loop: Header=BB33_3 Depth=1
	v_lshlrev_b32_e32 v1, 2, v5
	ds_write_b32 v1, v9
	s_branch .LBB33_2
.LBB33_7:
	s_or_b64 exec, exec, s[8:9]
	s_load_dwordx2 s[0:1], s[4:5], 0x10
	v_lshlrev_b32_e32 v16, 5, v0
	s_waitcnt lgkmcnt(0)
	s_and_b32 s1, s1, 31
	s_cmp_eq_u32 s1, 0
	s_cselect_b64 s[4:5], -1, 0
	s_and_b32 s0, s0, 31
	s_add_i32 s0, s0, s1
	s_sub_i32 s0, 32, s0
	s_sub_i32 s8, 32, s1
	s_waitcnt vmcnt(1)
	v_lshlrev_b32_sdwa v1, s0, v7 dst_sel:DWORD dst_unused:UNUSED_PAD src0_sel:DWORD src1_sel:WORD_0
	v_bfe_u32 v1, v1, s8, 16
	v_cndmask_b32_e64 v1, v1, 0, s[4:5]
	v_and_b32_e32 v3, 7, v1
	v_mul_u32_u24_e32 v3, 0x64, v3
	v_lshrrev_b32_e32 v1, 3, v1
	v_add_lshl_u32 v3, v3, v0, 1
	v_add_lshl_u32 v11, v3, v1, 1
	v_lshlrev_b32_sdwa v2, s0, v7 dst_sel:DWORD dst_unused:UNUSED_PAD src0_sel:DWORD src1_sel:WORD_1
	ds_read_u16 v1, v11
	v_bfe_u32 v2, v2, s8, 16
	v_cndmask_b32_e64 v2, v2, 0, s[4:5]
	v_and_b32_e32 v3, 7, v2
	v_mul_u32_u24_e32 v3, 0x64, v3
	v_lshrrev_b32_e32 v2, 3, v2
	s_waitcnt lgkmcnt(0)
	v_add_u16_e32 v4, 1, v1
	v_add_lshl_u32 v3, v3, v0, 1
	ds_write_b16 v11, v4
	v_add_lshl_u32 v13, v3, v2, 1
	ds_read_u16 v12, v13
	s_waitcnt vmcnt(0)
	v_lshlrev_b32_sdwa v2, s0, v6 dst_sel:DWORD dst_unused:UNUSED_PAD src0_sel:DWORD src1_sel:WORD_0
	v_bfe_u32 v2, v2, s8, 16
	v_cndmask_b32_e64 v2, v2, 0, s[4:5]
	s_waitcnt lgkmcnt(0)
	v_add_u16_e32 v3, 1, v12
	ds_write_b16 v13, v3
	v_and_b32_e32 v3, 7, v2
	v_mul_u32_u24_e32 v3, 0x64, v3
	v_lshrrev_b32_e32 v2, 3, v2
	v_add_lshl_u32 v3, v3, v0, 1
	v_add_lshl_u32 v15, v3, v2, 1
	ds_read_u16 v14, v15
	s_waitcnt lgkmcnt(0)
	v_add_u16_e32 v2, 1, v14
	ds_write_b16 v15, v2
	s_waitcnt lgkmcnt(0)
	s_barrier
	ds_read2_b32 v[8:9], v16 offset1:1
	ds_read2_b32 v[6:7], v16 offset0:2 offset1:3
	ds_read2_b32 v[2:3], v16 offset0:4 offset1:5
	;; [unrolled: 1-line block ×3, first 2 shown]
	s_waitcnt lgkmcnt(3)
	v_add_u32_e32 v17, v9, v8
	s_waitcnt lgkmcnt(2)
	v_add3_u32 v17, v17, v6, v7
	s_waitcnt lgkmcnt(1)
	v_add3_u32 v17, v17, v2, v3
	;; [unrolled: 2-line block ×3, first 2 shown]
	v_mbcnt_lo_u32_b32 v5, -1, 0
	v_mbcnt_hi_u32_b32 v5, -1, v5
	v_and_b32_e32 v18, 15, v5
	v_mov_b32_dpp v19, v17 row_shr:1 row_mask:0xf bank_mask:0xf
	v_cmp_ne_u32_e32 vcc, 0, v18
	v_cndmask_b32_e32 v19, 0, v19, vcc
	v_add_u32_e32 v17, v19, v17
	v_cmp_lt_u32_e32 vcc, 1, v18
	s_nop 0
	v_mov_b32_dpp v19, v17 row_shr:2 row_mask:0xf bank_mask:0xf
	v_cndmask_b32_e32 v19, 0, v19, vcc
	v_add_u32_e32 v17, v17, v19
	v_cmp_lt_u32_e32 vcc, 3, v18
	s_nop 0
	v_mov_b32_dpp v19, v17 row_shr:4 row_mask:0xf bank_mask:0xf
	;; [unrolled: 5-line block ×3, first 2 shown]
	v_cndmask_b32_e32 v18, 0, v19, vcc
	v_add_u32_e32 v17, v17, v18
	v_bfe_i32 v19, v5, 4, 1
	v_cmp_lt_u32_e32 vcc, 31, v5
	v_mov_b32_dpp v18, v17 row_bcast:15 row_mask:0xf bank_mask:0xf
	v_and_b32_e32 v18, v19, v18
	v_add_u32_e32 v17, v17, v18
	v_and_b32_e32 v19, 64, v0
	v_min_u32_e32 v19, 36, v19
	v_mov_b32_dpp v18, v17 row_bcast:31 row_mask:0xf bank_mask:0xf
	v_cndmask_b32_e32 v18, 0, v18, vcc
	v_add_u32_e32 v17, v17, v18
	v_lshrrev_b32_e32 v18, 6, v0
	v_add_u32_e32 v19, 63, v19
	v_cmp_eq_u32_e32 vcc, v19, v0
	v_lshlrev_b32_e32 v18, 2, v18
	s_and_saveexec_b64 s[0:1], vcc
	s_cbranch_execz .LBB33_9
; %bb.8:
	ds_write_b32 v18, v17 offset:3200
.LBB33_9:
	s_or_b64 exec, exec, s[0:1]
	v_cmp_gt_u32_e32 vcc, 2, v0
	s_waitcnt lgkmcnt(0)
	s_barrier
	s_and_saveexec_b64 s[0:1], vcc
	s_cbranch_execz .LBB33_11
; %bb.10:
	v_lshlrev_b32_e32 v19, 2, v0
	ds_read_b32 v20, v19 offset:3200
	v_bfe_i32 v21, v5, 0, 1
	s_waitcnt lgkmcnt(0)
	v_mov_b32_dpp v22, v20 row_shr:1 row_mask:0xf bank_mask:0xf
	v_and_b32_e32 v21, v21, v22
	v_add_u32_e32 v20, v21, v20
	ds_write_b32 v19, v20 offset:3200
.LBB33_11:
	s_or_b64 exec, exec, s[0:1]
	v_cmp_lt_u32_e32 vcc, 63, v0
	v_mov_b32_e32 v0, 0
	v_mov_b32_e32 v19, 0
	s_waitcnt lgkmcnt(0)
	s_barrier
	s_and_saveexec_b64 s[0:1], vcc
	s_cbranch_execz .LBB33_13
; %bb.12:
	ds_read_b32 v19, v18 offset:3196
.LBB33_13:
	s_or_b64 exec, exec, s[0:1]
	v_add_u32_e32 v18, -1, v5
	v_and_b32_e32 v20, 64, v5
	v_cmp_lt_i32_e32 vcc, v18, v20
	v_cndmask_b32_e32 v18, v18, v5, vcc
	s_waitcnt lgkmcnt(0)
	v_add_u32_e32 v17, v19, v17
	v_lshlrev_b32_e32 v18, 2, v18
	ds_bpermute_b32 v17, v18, v17
	ds_read_b32 v0, v0 offset:3204
	v_cmp_eq_u32_e32 vcc, 0, v5
	s_lshl_b64 s[0:1], s[6:7], 2
	s_add_u32 s0, s2, s0
	s_waitcnt lgkmcnt(1)
	v_cndmask_b32_e32 v5, v17, v19, vcc
	s_waitcnt lgkmcnt(0)
	v_lshl_add_u32 v0, v0, 16, v5
	v_add_u32_e32 v5, v0, v8
	v_add_u32_e32 v8, v5, v9
	;; [unrolled: 1-line block ×7, first 2 shown]
	ds_write2_b32 v16, v0, v5 offset1:1
	ds_write2_b32 v16, v8, v6 offset0:2 offset1:3
	ds_write2_b32 v16, v7, v2 offset0:4 offset1:5
	ds_write2_b32 v16, v3, v4 offset0:6 offset1:7
	s_waitcnt lgkmcnt(0)
	s_barrier
	ds_read_u16 v0, v11
	ds_read_u16 v2, v13
	;; [unrolled: 1-line block ×3, first 2 shown]
	s_addc_u32 s1, s3, s1
	s_waitcnt lgkmcnt(2)
	v_add_u32_sdwa v0, v0, v1 dst_sel:DWORD dst_unused:UNUSED_PAD src0_sel:DWORD src1_sel:WORD_0
	s_waitcnt lgkmcnt(1)
	v_add_u32_sdwa v1, v2, v12 dst_sel:DWORD dst_unused:UNUSED_PAD src0_sel:DWORD src1_sel:WORD_0
	;; [unrolled: 2-line block ×3, first 2 shown]
	v_lshlrev_b32_e32 v3, 2, v10
	global_store_dwordx3 v3, v[0:2], s[0:1]
	s_endpgm
	.section	.rodata,"a",@progbits
	.p2align	6, 0x0
	.amdhsa_kernel _Z11rank_kernelILj100ELj3ELj4ELb0EL18RadixRankAlgorithm1EtEvPKT4_Pijj
		.amdhsa_group_segment_fixed_size 3216
		.amdhsa_private_segment_fixed_size 0
		.amdhsa_kernarg_size 24
		.amdhsa_user_sgpr_count 6
		.amdhsa_user_sgpr_private_segment_buffer 1
		.amdhsa_user_sgpr_dispatch_ptr 0
		.amdhsa_user_sgpr_queue_ptr 0
		.amdhsa_user_sgpr_kernarg_segment_ptr 1
		.amdhsa_user_sgpr_dispatch_id 0
		.amdhsa_user_sgpr_flat_scratch_init 0
		.amdhsa_user_sgpr_kernarg_preload_length 0
		.amdhsa_user_sgpr_kernarg_preload_offset 0
		.amdhsa_user_sgpr_private_segment_size 0
		.amdhsa_uses_dynamic_stack 0
		.amdhsa_system_sgpr_private_segment_wavefront_offset 0
		.amdhsa_system_sgpr_workgroup_id_x 1
		.amdhsa_system_sgpr_workgroup_id_y 0
		.amdhsa_system_sgpr_workgroup_id_z 0
		.amdhsa_system_sgpr_workgroup_info 0
		.amdhsa_system_vgpr_workitem_id 0
		.amdhsa_next_free_vgpr 23
		.amdhsa_next_free_sgpr 15
		.amdhsa_accum_offset 24
		.amdhsa_reserve_vcc 1
		.amdhsa_reserve_flat_scratch 0
		.amdhsa_float_round_mode_32 0
		.amdhsa_float_round_mode_16_64 0
		.amdhsa_float_denorm_mode_32 3
		.amdhsa_float_denorm_mode_16_64 3
		.amdhsa_dx10_clamp 1
		.amdhsa_ieee_mode 1
		.amdhsa_fp16_overflow 0
		.amdhsa_tg_split 0
		.amdhsa_exception_fp_ieee_invalid_op 0
		.amdhsa_exception_fp_denorm_src 0
		.amdhsa_exception_fp_ieee_div_zero 0
		.amdhsa_exception_fp_ieee_overflow 0
		.amdhsa_exception_fp_ieee_underflow 0
		.amdhsa_exception_fp_ieee_inexact 0
		.amdhsa_exception_int_div_zero 0
	.end_amdhsa_kernel
	.section	.text._Z11rank_kernelILj100ELj3ELj4ELb0EL18RadixRankAlgorithm1EtEvPKT4_Pijj,"axG",@progbits,_Z11rank_kernelILj100ELj3ELj4ELb0EL18RadixRankAlgorithm1EtEvPKT4_Pijj,comdat
.Lfunc_end33:
	.size	_Z11rank_kernelILj100ELj3ELj4ELb0EL18RadixRankAlgorithm1EtEvPKT4_Pijj, .Lfunc_end33-_Z11rank_kernelILj100ELj3ELj4ELb0EL18RadixRankAlgorithm1EtEvPKT4_Pijj
                                        ; -- End function
	.section	.AMDGPU.csdata,"",@progbits
; Kernel info:
; codeLenInByte = 1184
; NumSgprs: 19
; NumVgprs: 23
; NumAgprs: 0
; TotalNumVgprs: 23
; ScratchSize: 0
; MemoryBound: 0
; FloatMode: 240
; IeeeMode: 1
; LDSByteSize: 3216 bytes/workgroup (compile time only)
; SGPRBlocks: 2
; VGPRBlocks: 2
; NumSGPRsForWavesPerEU: 19
; NumVGPRsForWavesPerEU: 23
; AccumOffset: 24
; Occupancy: 8
; WaveLimiterHint : 0
; COMPUTE_PGM_RSRC2:SCRATCH_EN: 0
; COMPUTE_PGM_RSRC2:USER_SGPR: 6
; COMPUTE_PGM_RSRC2:TRAP_HANDLER: 0
; COMPUTE_PGM_RSRC2:TGID_X_EN: 1
; COMPUTE_PGM_RSRC2:TGID_Y_EN: 0
; COMPUTE_PGM_RSRC2:TGID_Z_EN: 0
; COMPUTE_PGM_RSRC2:TIDIG_COMP_CNT: 0
; COMPUTE_PGM_RSRC3_GFX90A:ACCUM_OFFSET: 5
; COMPUTE_PGM_RSRC3_GFX90A:TG_SPLIT: 0
	.section	.text._Z11rank_kernelILj464ELj2ELj4ELb1EL18RadixRankAlgorithm1EcEvPKT4_Pijj,"axG",@progbits,_Z11rank_kernelILj464ELj2ELj4ELb1EL18RadixRankAlgorithm1EcEvPKT4_Pijj,comdat
	.protected	_Z11rank_kernelILj464ELj2ELj4ELb1EL18RadixRankAlgorithm1EcEvPKT4_Pijj ; -- Begin function _Z11rank_kernelILj464ELj2ELj4ELb1EL18RadixRankAlgorithm1EcEvPKT4_Pijj
	.globl	_Z11rank_kernelILj464ELj2ELj4ELb1EL18RadixRankAlgorithm1EcEvPKT4_Pijj
	.p2align	8
	.type	_Z11rank_kernelILj464ELj2ELj4ELb1EL18RadixRankAlgorithm1EcEvPKT4_Pijj,@function
_Z11rank_kernelILj464ELj2ELj4ELb1EL18RadixRankAlgorithm1EcEvPKT4_Pijj: ; @_Z11rank_kernelILj464ELj2ELj4ELb1EL18RadixRankAlgorithm1EcEvPKT4_Pijj
; %bb.0:
	s_load_dwordx4 s[0:3], s[4:5], 0x0
	s_mulk_i32 s6, 0x3a0
	v_lshlrev_b32_e32 v2, 1, v0
	v_sub_u32_e32 v1, 0xcaf, v0
	v_mul_hi_u32_u24_e32 v1, 0x8d3dcc, v1
	s_waitcnt lgkmcnt(0)
	s_add_u32 s0, s0, s6
	s_addc_u32 s1, s1, 0
	global_load_ushort v5, v2, s[0:1]
	s_mov_b32 s7, 0
	v_add_u32_e32 v3, 3, v1
	v_add_u32_e32 v4, 1, v1
	;; [unrolled: 1-line block ×3, first 2 shown]
	v_mov_b32_e32 v8, 0
	v_and_b32_e32 v9, 30, v3
	v_mov_b32_e32 v3, v4
	s_mov_b64 s[8:9], 0
	s_mov_b32 s12, s7
	v_pk_mov_b32 v[6:7], v[0:1], v[0:1] op_sel:[0,1]
	s_branch .LBB34_2
.LBB34_1:                               ;   in Loop: Header=BB34_2 Depth=1
	s_or_b64 exec, exec, s[0:1]
	s_add_i32 s12, s12, 2
	v_cmp_eq_u32_e32 vcc, s12, v9
	v_add_u32_e32 v7, 0x3a0, v7
	s_or_b64 s[8:9], vcc, s[8:9]
	v_add_u32_e32 v6, 0x3a0, v6
	s_andn2_b64 exec, exec, s[8:9]
	s_cbranch_execz .LBB34_6
.LBB34_2:                               ; =>This Inner Loop Header: Depth=1
	s_or_b32 s0, s12, 1
	v_cmp_le_u32_e32 vcc, s0, v3
	v_cmp_le_u32_e64 s[0:1], s12, v4
	s_and_saveexec_b64 s[10:11], s[0:1]
	s_cbranch_execz .LBB34_4
; %bb.3:                                ;   in Loop: Header=BB34_2 Depth=1
	v_lshlrev_b32_e32 v1, 2, v6
	ds_write_b32 v1, v8
.LBB34_4:                               ;   in Loop: Header=BB34_2 Depth=1
	s_or_b64 exec, exec, s[10:11]
	s_and_saveexec_b64 s[0:1], vcc
	s_cbranch_execz .LBB34_1
; %bb.5:                                ;   in Loop: Header=BB34_2 Depth=1
	v_lshlrev_b32_e32 v1, 2, v7
	ds_write_b32 v1, v8
	s_branch .LBB34_1
.LBB34_6:
	s_or_b64 exec, exec, s[8:9]
	s_load_dwordx2 s[0:1], s[4:5], 0x10
	s_waitcnt vmcnt(0)
	v_xor_b32_e32 v1, 0x80, v5
	v_lshlrev_b32_e32 v14, 5, v0
	s_waitcnt lgkmcnt(0)
	s_and_b32 s1, s1, 31
	s_cmp_eq_u32 s1, 0
	s_cselect_b64 s[4:5], -1, 0
	s_and_b32 s0, s0, 31
	s_add_i32 s0, s0, s1
	s_sub_i32 s0, 32, s0
	s_sub_i32 s8, 32, s1
	v_lshlrev_b32_sdwa v1, s0, v1 dst_sel:DWORD dst_unused:UNUSED_PAD src0_sel:DWORD src1_sel:BYTE_0
	v_bfe_u32 v1, v1, s8, 8
	v_xor_b32_e32 v1, 15, v1
	v_cndmask_b32_e64 v1, v1, 15, s[4:5]
	v_and_b32_e32 v3, 7, v1
	v_mul_u32_u24_e32 v3, 0x1d0, v3
	v_lshrrev_b32_e32 v1, 3, v1
	v_add_lshl_u32 v3, v3, v0, 1
	v_add_lshl_u32 v3, v3, v1, 1
	ds_read_u16 v1, v3
	s_movk_i32 s1, 0x80
	v_xor_b32_sdwa v4, v5, s1 dst_sel:DWORD dst_unused:UNUSED_PAD src0_sel:BYTE_1 src1_sel:DWORD
	v_lshlrev_b32_sdwa v4, s0, v4 dst_sel:DWORD dst_unused:UNUSED_PAD src0_sel:DWORD src1_sel:WORD_0
	v_bfe_u32 v4, v4, s8, 8
	v_xor_b32_e32 v4, 15, v4
	s_waitcnt lgkmcnt(0)
	v_add_u16_e32 v5, 1, v1
	v_cndmask_b32_e64 v4, v4, 15, s[4:5]
	ds_write_b16 v3, v5
	v_and_b32_e32 v5, 7, v4
	v_mul_u32_u24_e32 v5, 0x1d0, v5
	v_lshrrev_b32_e32 v4, 3, v4
	v_add_lshl_u32 v5, v5, v0, 1
	v_add_lshl_u32 v13, v5, v4, 1
	ds_read_u16 v12, v13
	s_waitcnt lgkmcnt(0)
	v_add_u16_e32 v4, 1, v12
	ds_write_b16 v13, v4
	s_waitcnt lgkmcnt(0)
	s_barrier
	ds_read2_b32 v[10:11], v14 offset1:1
	ds_read2_b32 v[8:9], v14 offset0:2 offset1:3
	ds_read2_b32 v[4:5], v14 offset0:4 offset1:5
	;; [unrolled: 1-line block ×3, first 2 shown]
	s_waitcnt lgkmcnt(3)
	v_add_u32_e32 v15, v11, v10
	s_waitcnt lgkmcnt(2)
	v_add3_u32 v15, v15, v8, v9
	s_waitcnt lgkmcnt(1)
	v_add3_u32 v15, v15, v4, v5
	;; [unrolled: 2-line block ×3, first 2 shown]
	v_mbcnt_lo_u32_b32 v7, -1, 0
	v_mbcnt_hi_u32_b32 v7, -1, v7
	v_and_b32_e32 v16, 15, v7
	v_mov_b32_dpp v17, v15 row_shr:1 row_mask:0xf bank_mask:0xf
	v_cmp_ne_u32_e32 vcc, 0, v16
	v_cndmask_b32_e32 v17, 0, v17, vcc
	v_add_u32_e32 v15, v17, v15
	v_cmp_lt_u32_e32 vcc, 1, v16
	s_nop 0
	v_mov_b32_dpp v17, v15 row_shr:2 row_mask:0xf bank_mask:0xf
	v_cndmask_b32_e32 v17, 0, v17, vcc
	v_add_u32_e32 v15, v15, v17
	v_cmp_lt_u32_e32 vcc, 3, v16
	s_nop 0
	v_mov_b32_dpp v17, v15 row_shr:4 row_mask:0xf bank_mask:0xf
	v_cndmask_b32_e32 v17, 0, v17, vcc
	v_add_u32_e32 v15, v15, v17
	v_cmp_lt_u32_e32 vcc, 7, v16
	s_nop 0
	v_mov_b32_dpp v17, v15 row_shr:8 row_mask:0xf bank_mask:0xf
	v_cndmask_b32_e32 v16, 0, v17, vcc
	v_add_u32_e32 v15, v15, v16
	v_bfe_i32 v17, v7, 4, 1
	v_cmp_lt_u32_e32 vcc, 31, v7
	v_mov_b32_dpp v16, v15 row_bcast:15 row_mask:0xf bank_mask:0xf
	v_and_b32_e32 v16, v17, v16
	v_add_u32_e32 v15, v15, v16
	v_and_b32_e32 v17, 0x1c0, v0
	v_min_u32_e32 v17, 0x190, v17
	v_mov_b32_dpp v16, v15 row_bcast:31 row_mask:0xf bank_mask:0xf
	v_cndmask_b32_e32 v16, 0, v16, vcc
	v_add_u32_e32 v15, v15, v16
	v_lshrrev_b32_e32 v16, 6, v0
	v_add_u32_e32 v17, 63, v17
	v_cmp_eq_u32_e32 vcc, v17, v0
	v_lshlrev_b32_e32 v16, 2, v16
	s_and_saveexec_b64 s[0:1], vcc
	s_cbranch_execz .LBB34_8
; %bb.7:
	ds_write_b32 v16, v15 offset:14848
.LBB34_8:
	s_or_b64 exec, exec, s[0:1]
	v_cmp_gt_u32_e32 vcc, 8, v0
	s_waitcnt lgkmcnt(0)
	s_barrier
	s_and_saveexec_b64 s[0:1], vcc
	s_cbranch_execz .LBB34_10
; %bb.9:
	v_lshlrev_b32_e32 v17, 2, v0
	ds_read_b32 v18, v17 offset:14848
	v_and_b32_e32 v19, 7, v7
	v_cmp_ne_u32_e32 vcc, 0, v19
	s_waitcnt lgkmcnt(0)
	v_mov_b32_dpp v20, v18 row_shr:1 row_mask:0xf bank_mask:0xf
	v_cndmask_b32_e32 v20, 0, v20, vcc
	v_add_u32_e32 v18, v20, v18
	v_cmp_lt_u32_e32 vcc, 1, v19
	s_nop 0
	v_mov_b32_dpp v20, v18 row_shr:2 row_mask:0xf bank_mask:0xf
	v_cndmask_b32_e32 v20, 0, v20, vcc
	v_add_u32_e32 v18, v18, v20
	v_cmp_lt_u32_e32 vcc, 3, v19
	s_nop 0
	v_mov_b32_dpp v20, v18 row_shr:4 row_mask:0xf bank_mask:0xf
	v_cndmask_b32_e32 v19, 0, v20, vcc
	v_add_u32_e32 v18, v18, v19
	ds_write_b32 v17, v18 offset:14848
.LBB34_10:
	s_or_b64 exec, exec, s[0:1]
	v_cmp_lt_u32_e32 vcc, 63, v0
	v_mov_b32_e32 v0, 0
	v_mov_b32_e32 v17, 0
	s_waitcnt lgkmcnt(0)
	s_barrier
	s_and_saveexec_b64 s[0:1], vcc
	s_cbranch_execz .LBB34_12
; %bb.11:
	ds_read_b32 v17, v16 offset:14844
.LBB34_12:
	s_or_b64 exec, exec, s[0:1]
	v_add_u32_e32 v16, -1, v7
	v_and_b32_e32 v18, 64, v7
	v_cmp_lt_i32_e32 vcc, v16, v18
	v_cndmask_b32_e32 v16, v16, v7, vcc
	s_waitcnt lgkmcnt(0)
	v_add_u32_e32 v15, v17, v15
	v_lshlrev_b32_e32 v16, 2, v16
	ds_bpermute_b32 v15, v16, v15
	ds_read_b32 v0, v0 offset:14876
	v_cmp_eq_u32_e32 vcc, 0, v7
	s_lshl_b64 s[0:1], s[6:7], 2
	s_add_u32 s0, s2, s0
	s_waitcnt lgkmcnt(1)
	v_cndmask_b32_e32 v7, v15, v17, vcc
	s_waitcnt lgkmcnt(0)
	v_lshl_add_u32 v0, v0, 16, v7
	v_add_u32_e32 v7, v0, v10
	v_add_u32_e32 v10, v7, v11
	;; [unrolled: 1-line block ×7, first 2 shown]
	ds_write2_b32 v14, v0, v7 offset1:1
	ds_write2_b32 v14, v10, v8 offset0:2 offset1:3
	ds_write2_b32 v14, v9, v4 offset0:4 offset1:5
	;; [unrolled: 1-line block ×3, first 2 shown]
	s_waitcnt lgkmcnt(0)
	s_barrier
	ds_read_u16 v0, v3
	ds_read_u16 v3, v13
	s_addc_u32 s1, s3, s1
	v_lshlrev_b32_e32 v2, 2, v2
	s_waitcnt lgkmcnt(1)
	v_add_u32_sdwa v0, v0, v1 dst_sel:DWORD dst_unused:UNUSED_PAD src0_sel:DWORD src1_sel:WORD_0
	s_waitcnt lgkmcnt(0)
	v_add_u32_sdwa v1, v3, v12 dst_sel:DWORD dst_unused:UNUSED_PAD src0_sel:DWORD src1_sel:WORD_0
	global_store_dwordx2 v2, v[0:1], s[0:1]
	s_endpgm
	.section	.rodata,"a",@progbits
	.p2align	6, 0x0
	.amdhsa_kernel _Z11rank_kernelILj464ELj2ELj4ELb1EL18RadixRankAlgorithm1EcEvPKT4_Pijj
		.amdhsa_group_segment_fixed_size 14880
		.amdhsa_private_segment_fixed_size 0
		.amdhsa_kernarg_size 24
		.amdhsa_user_sgpr_count 6
		.amdhsa_user_sgpr_private_segment_buffer 1
		.amdhsa_user_sgpr_dispatch_ptr 0
		.amdhsa_user_sgpr_queue_ptr 0
		.amdhsa_user_sgpr_kernarg_segment_ptr 1
		.amdhsa_user_sgpr_dispatch_id 0
		.amdhsa_user_sgpr_flat_scratch_init 0
		.amdhsa_user_sgpr_kernarg_preload_length 0
		.amdhsa_user_sgpr_kernarg_preload_offset 0
		.amdhsa_user_sgpr_private_segment_size 0
		.amdhsa_uses_dynamic_stack 0
		.amdhsa_system_sgpr_private_segment_wavefront_offset 0
		.amdhsa_system_sgpr_workgroup_id_x 1
		.amdhsa_system_sgpr_workgroup_id_y 0
		.amdhsa_system_sgpr_workgroup_id_z 0
		.amdhsa_system_sgpr_workgroup_info 0
		.amdhsa_system_vgpr_workitem_id 0
		.amdhsa_next_free_vgpr 21
		.amdhsa_next_free_sgpr 13
		.amdhsa_accum_offset 24
		.amdhsa_reserve_vcc 1
		.amdhsa_reserve_flat_scratch 0
		.amdhsa_float_round_mode_32 0
		.amdhsa_float_round_mode_16_64 0
		.amdhsa_float_denorm_mode_32 3
		.amdhsa_float_denorm_mode_16_64 3
		.amdhsa_dx10_clamp 1
		.amdhsa_ieee_mode 1
		.amdhsa_fp16_overflow 0
		.amdhsa_tg_split 0
		.amdhsa_exception_fp_ieee_invalid_op 0
		.amdhsa_exception_fp_denorm_src 0
		.amdhsa_exception_fp_ieee_div_zero 0
		.amdhsa_exception_fp_ieee_overflow 0
		.amdhsa_exception_fp_ieee_underflow 0
		.amdhsa_exception_fp_ieee_inexact 0
		.amdhsa_exception_int_div_zero 0
	.end_amdhsa_kernel
	.section	.text._Z11rank_kernelILj464ELj2ELj4ELb1EL18RadixRankAlgorithm1EcEvPKT4_Pijj,"axG",@progbits,_Z11rank_kernelILj464ELj2ELj4ELb1EL18RadixRankAlgorithm1EcEvPKT4_Pijj,comdat
.Lfunc_end34:
	.size	_Z11rank_kernelILj464ELj2ELj4ELb1EL18RadixRankAlgorithm1EcEvPKT4_Pijj, .Lfunc_end34-_Z11rank_kernelILj464ELj2ELj4ELb1EL18RadixRankAlgorithm1EcEvPKT4_Pijj
                                        ; -- End function
	.section	.AMDGPU.csdata,"",@progbits
; Kernel info:
; codeLenInByte = 1104
; NumSgprs: 17
; NumVgprs: 21
; NumAgprs: 0
; TotalNumVgprs: 21
; ScratchSize: 0
; MemoryBound: 0
; FloatMode: 240
; IeeeMode: 1
; LDSByteSize: 14880 bytes/workgroup (compile time only)
; SGPRBlocks: 2
; VGPRBlocks: 2
; NumSGPRsForWavesPerEU: 17
; NumVGPRsForWavesPerEU: 21
; AccumOffset: 24
; Occupancy: 8
; WaveLimiterHint : 0
; COMPUTE_PGM_RSRC2:SCRATCH_EN: 0
; COMPUTE_PGM_RSRC2:USER_SGPR: 6
; COMPUTE_PGM_RSRC2:TRAP_HANDLER: 0
; COMPUTE_PGM_RSRC2:TGID_X_EN: 1
; COMPUTE_PGM_RSRC2:TGID_Y_EN: 0
; COMPUTE_PGM_RSRC2:TGID_Z_EN: 0
; COMPUTE_PGM_RSRC2:TIDIG_COMP_CNT: 0
; COMPUTE_PGM_RSRC3_GFX90A:ACCUM_OFFSET: 5
; COMPUTE_PGM_RSRC3_GFX90A:TG_SPLIT: 0
	.section	.text._Z11rank_kernelILj33ELj5ELj4ELb0EL18RadixRankAlgorithm1EdEvPKT4_Pijj,"axG",@progbits,_Z11rank_kernelILj33ELj5ELj4ELb0EL18RadixRankAlgorithm1EdEvPKT4_Pijj,comdat
	.protected	_Z11rank_kernelILj33ELj5ELj4ELb0EL18RadixRankAlgorithm1EdEvPKT4_Pijj ; -- Begin function _Z11rank_kernelILj33ELj5ELj4ELb0EL18RadixRankAlgorithm1EdEvPKT4_Pijj
	.globl	_Z11rank_kernelILj33ELj5ELj4ELb0EL18RadixRankAlgorithm1EdEvPKT4_Pijj
	.p2align	8
	.type	_Z11rank_kernelILj33ELj5ELj4ELb0EL18RadixRankAlgorithm1EdEvPKT4_Pijj,@function
_Z11rank_kernelILj33ELj5ELj4ELb0EL18RadixRankAlgorithm1EdEvPKT4_Pijj: ; @_Z11rank_kernelILj33ELj5ELj4ELb0EL18RadixRankAlgorithm1EdEvPKT4_Pijj
; %bb.0:
	s_load_dwordx4 s[0:3], s[4:5], 0x0
	s_mulk_i32 s6, 0xa5
	s_mov_b32 s7, 0
	s_lshl_b64 s[8:9], s[6:7], 3
	v_mul_u32_u24_e32 v16, 5, v0
	s_waitcnt lgkmcnt(0)
	s_add_u32 s0, s0, s8
	s_addc_u32 s1, s1, s9
	v_lshlrev_b32_e32 v1, 3, v16
	global_load_dwordx2 v[10:11], v1, s[0:1] offset:32
	global_load_dwordx4 v[2:5], v1, s[0:1] offset:16
	global_load_dwordx4 v[6:9], v1, s[0:1]
	s_movk_i32 s0, 0x108
	v_cmp_gt_u32_e32 vcc, s0, v0
	s_and_saveexec_b64 s[8:9], vcc
	s_cbranch_execz .LBB35_7
; %bb.1:
	s_movk_i32 s0, 0xe7
	v_mov_b32_e32 v1, 0xe7
	v_cmp_gt_u32_e32 vcc, s0, v0
	v_subb_co_u32_e64 v1, s[0:1], v1, v0, vcc
	s_mov_b32 s0, 0x7c1f07d
	v_mul_hi_u32 v1, v1, s0
	v_addc_co_u32_e64 v12, s[0:1], 0, v1, vcc
	v_addc_co_u32_e32 v1, vcc, 2, v1, vcc
	v_and_b32_e32 v17, 14, v1
	v_add_u32_e32 v1, 33, v0
	v_mov_b32_e32 v13, v12
	s_mov_b64 s[10:11], 0
	v_mov_b32_e32 v18, 0
	s_mov_b32 s14, s7
	v_pk_mov_b32 v[14:15], v[0:1], v[0:1] op_sel:[0,1]
	s_branch .LBB35_3
.LBB35_2:                               ;   in Loop: Header=BB35_3 Depth=1
	s_or_b64 exec, exec, s[0:1]
	s_add_i32 s14, s14, 2
	v_cmp_eq_u32_e32 vcc, s14, v17
	v_add_u32_e32 v15, 0x42, v15
	s_or_b64 s[10:11], vcc, s[10:11]
	v_add_u32_e32 v14, 0x42, v14
	s_andn2_b64 exec, exec, s[10:11]
	s_cbranch_execz .LBB35_7
.LBB35_3:                               ; =>This Inner Loop Header: Depth=1
	s_or_b32 s0, s14, 1
	v_cmp_le_u32_e32 vcc, s0, v13
	v_cmp_le_u32_e64 s[0:1], s14, v12
	s_and_saveexec_b64 s[12:13], s[0:1]
	s_cbranch_execz .LBB35_5
; %bb.4:                                ;   in Loop: Header=BB35_3 Depth=1
	v_lshlrev_b32_e32 v1, 2, v14
	ds_write_b32 v1, v18
.LBB35_5:                               ;   in Loop: Header=BB35_3 Depth=1
	s_or_b64 exec, exec, s[12:13]
	s_and_saveexec_b64 s[0:1], vcc
	s_cbranch_execz .LBB35_2
; %bb.6:                                ;   in Loop: Header=BB35_3 Depth=1
	v_lshlrev_b32_e32 v1, 2, v15
	ds_write_b32 v1, v18
	s_branch .LBB35_2
.LBB35_7:
	s_or_b64 exec, exec, s[8:9]
	s_load_dwordx2 s[4:5], s[4:5], 0x10
	v_mov_b32_e32 v12, 0
	v_mov_b32_e32 v14, 0
	s_waitcnt lgkmcnt(0)
	s_and_b32 s10, s5, 63
	s_cmp_lg_u32 s10, 0
	s_cselect_b64 s[8:9], -1, 0
	s_sub_u32 s5, 64, s10
	s_and_b64 vcc, exec, s[8:9]
	s_cbranch_vccz .LBB35_9
; %bb.8:
	v_bfrev_b32_e32 v1, 1
	s_waitcnt vmcnt(0)
	v_cmp_lt_i64_e32 vcc, -1, v[6:7]
	s_mov_b32 s0, -1
	v_cndmask_b32_e32 v13, -1, v1, vcc
	v_ashrrev_i32_e32 v14, 31, v7
	s_brev_b32 s1, -2
	v_xor_b32_e32 v7, v13, v7
	v_xor_b32_e32 v6, v14, v6
	v_cmp_ne_u64_e32 vcc, s[0:1], v[6:7]
	s_and_b32 s0, s4, 63
	s_add_i32 s0, s0, s10
	v_cndmask_b32_e32 v7, v1, v7, vcc
	v_cndmask_b32_e32 v6, 0, v6, vcc
	s_sub_i32 s0, 64, s0
	v_lshlrev_b64 v[6:7], s0, v[6:7]
	v_lshrrev_b64 v[14:15], s5, v[6:7]
.LBB35_9:
	v_and_b32_e32 v1, 7, v14
	v_mul_u32_u24_e32 v1, 33, v1
	s_waitcnt vmcnt(0)
	v_lshrrev_b32_e32 v6, 3, v14
	v_add_lshl_u32 v1, v1, v0, 1
	v_add_lshl_u32 v14, v1, v6, 1
	ds_read_u16 v1, v14
	v_cndmask_b32_e64 v6, 0, 1, s[8:9]
	v_cmp_ne_u32_e64 s[0:1], 1, v6
	s_andn2_b64 vcc, exec, s[8:9]
	s_waitcnt lgkmcnt(0)
	v_add_u16_e32 v6, 1, v1
	ds_write_b16 v14, v6
	v_mov_b32_e32 v6, 0
	s_cbranch_vccnz .LBB35_11
; %bb.10:
	v_bfrev_b32_e32 v13, 1
	v_cmp_lt_i64_e32 vcc, -1, v[8:9]
	s_mov_b32 s8, -1
	v_cndmask_b32_e32 v6, -1, v13, vcc
	v_ashrrev_i32_e32 v15, 31, v9
	s_brev_b32 s9, -2
	v_xor_b32_e32 v7, v6, v9
	v_xor_b32_e32 v6, v15, v8
	v_cmp_ne_u64_e32 vcc, s[8:9], v[6:7]
	s_and_b32 s8, s4, 63
	s_add_i32 s8, s8, s10
	v_cndmask_b32_e32 v7, v13, v7, vcc
	v_cndmask_b32_e32 v6, 0, v6, vcc
	s_sub_i32 s8, 64, s8
	v_lshlrev_b64 v[6:7], s8, v[6:7]
	v_lshrrev_b64 v[6:7], s5, v[6:7]
.LBB35_11:
	v_and_b32_e32 v7, 7, v6
	v_mul_u32_u24_e32 v7, 33, v7
	v_lshrrev_b32_e32 v6, 3, v6
	v_add_lshl_u32 v7, v7, v0, 1
	v_add_lshl_u32 v17, v7, v6, 1
	ds_read_u16 v15, v17
	s_and_b64 vcc, exec, s[0:1]
	s_waitcnt lgkmcnt(0)
	v_add_u16_e32 v6, 1, v15
	ds_write_b16 v17, v6
	s_cbranch_vccnz .LBB35_13
; %bb.12:
	v_bfrev_b32_e32 v6, 1
	v_cmp_lt_i64_e32 vcc, -1, v[2:3]
	s_mov_b32 s8, -1
	v_cndmask_b32_e32 v7, -1, v6, vcc
	v_ashrrev_i32_e32 v8, 31, v3
	s_brev_b32 s9, -2
	v_xor_b32_e32 v3, v7, v3
	v_xor_b32_e32 v2, v8, v2
	v_cmp_ne_u64_e32 vcc, s[8:9], v[2:3]
	s_and_b32 s8, s4, 63
	s_add_i32 s8, s8, s10
	v_cndmask_b32_e32 v3, v6, v3, vcc
	v_cndmask_b32_e32 v2, 0, v2, vcc
	s_sub_i32 s8, 64, s8
	v_lshlrev_b64 v[2:3], s8, v[2:3]
	v_lshrrev_b64 v[12:13], s5, v[2:3]
.LBB35_13:
	v_and_b32_e32 v2, 7, v12
	v_mul_u32_u24_e32 v2, 33, v2
	v_lshrrev_b32_e32 v3, 3, v12
	v_add_lshl_u32 v2, v2, v0, 1
	v_add_lshl_u32 v13, v2, v3, 1
	ds_read_u16 v12, v13
	s_and_b64 vcc, exec, s[0:1]
	v_mov_b32_e32 v2, 0
	v_mov_b32_e32 v6, 0
	s_waitcnt lgkmcnt(0)
	v_add_u16_e32 v3, 1, v12
	ds_write_b16 v13, v3
	s_cbranch_vccnz .LBB35_15
; %bb.14:
	v_bfrev_b32_e32 v3, 1
	v_cmp_lt_i64_e32 vcc, -1, v[4:5]
	s_mov_b32 s8, -1
	v_cndmask_b32_e32 v6, -1, v3, vcc
	v_ashrrev_i32_e32 v7, 31, v5
	s_brev_b32 s9, -2
	v_xor_b32_e32 v5, v6, v5
	v_xor_b32_e32 v4, v7, v4
	v_cmp_ne_u64_e32 vcc, s[8:9], v[4:5]
	s_and_b32 s8, s4, 63
	s_add_i32 s8, s8, s10
	v_cndmask_b32_e32 v5, v3, v5, vcc
	v_cndmask_b32_e32 v4, 0, v4, vcc
	s_sub_i32 s8, 64, s8
	v_lshlrev_b64 v[4:5], s8, v[4:5]
	v_lshrrev_b64 v[6:7], s5, v[4:5]
.LBB35_15:
	v_and_b32_e32 v3, 7, v6
	v_mul_u32_u24_e32 v3, 33, v3
	v_lshrrev_b32_e32 v4, 3, v6
	v_add_lshl_u32 v3, v3, v0, 1
	v_add_lshl_u32 v19, v3, v4, 1
	ds_read_u16 v18, v19
	s_and_b64 vcc, exec, s[0:1]
	s_waitcnt lgkmcnt(0)
	v_add_u16_e32 v3, 1, v18
	ds_write_b16 v19, v3
	s_cbranch_vccnz .LBB35_17
; %bb.16:
	v_bfrev_b32_e32 v4, 1
	v_cmp_lt_i64_e32 vcc, -1, v[10:11]
	s_mov_b32 s0, -1
	v_cndmask_b32_e32 v2, -1, v4, vcc
	v_ashrrev_i32_e32 v5, 31, v11
	s_brev_b32 s1, -2
	v_xor_b32_e32 v3, v2, v11
	v_xor_b32_e32 v2, v5, v10
	v_cmp_ne_u64_e32 vcc, s[0:1], v[2:3]
	s_and_b32 s0, s4, 63
	s_add_i32 s0, s0, s10
	v_cndmask_b32_e32 v3, v4, v3, vcc
	v_cndmask_b32_e32 v2, 0, v2, vcc
	s_sub_i32 s0, 64, s0
	v_lshlrev_b64 v[2:3], s0, v[2:3]
	v_lshrrev_b64 v[2:3], s5, v[2:3]
.LBB35_17:
	v_and_b32_e32 v3, 7, v2
	v_mul_u32_u24_e32 v3, 33, v3
	v_lshrrev_b32_e32 v2, 3, v2
	v_add_lshl_u32 v3, v3, v0, 1
	v_add_lshl_u32 v11, v3, v2, 1
	ds_read_u16 v10, v11
	v_lshlrev_b32_e32 v20, 5, v0
	s_waitcnt lgkmcnt(0)
	v_add_u16_e32 v2, 1, v10
	ds_write_b16 v11, v2
	s_waitcnt lgkmcnt(0)
	; wave barrier
	s_waitcnt lgkmcnt(0)
	ds_read2_b32 v[8:9], v20 offset1:1
	ds_read2_b32 v[6:7], v20 offset0:2 offset1:3
	ds_read2_b32 v[2:3], v20 offset0:4 offset1:5
	;; [unrolled: 1-line block ×3, first 2 shown]
	s_waitcnt lgkmcnt(3)
	v_add_u32_e32 v21, v9, v8
	s_waitcnt lgkmcnt(2)
	v_add3_u32 v21, v21, v6, v7
	s_waitcnt lgkmcnt(1)
	v_add3_u32 v21, v21, v2, v3
	;; [unrolled: 2-line block ×3, first 2 shown]
	v_mbcnt_lo_u32_b32 v5, -1, 0
	v_mbcnt_hi_u32_b32 v5, -1, v5
	v_and_b32_e32 v22, 15, v5
	v_mov_b32_dpp v23, v21 row_shr:1 row_mask:0xf bank_mask:0xf
	v_cmp_ne_u32_e32 vcc, 0, v22
	v_cndmask_b32_e32 v23, 0, v23, vcc
	v_add_u32_e32 v21, v23, v21
	v_cmp_lt_u32_e32 vcc, 1, v22
	s_nop 0
	v_mov_b32_dpp v23, v21 row_shr:2 row_mask:0xf bank_mask:0xf
	v_cndmask_b32_e32 v23, 0, v23, vcc
	v_add_u32_e32 v21, v21, v23
	v_cmp_lt_u32_e32 vcc, 3, v22
	s_nop 0
	v_mov_b32_dpp v23, v21 row_shr:4 row_mask:0xf bank_mask:0xf
	;; [unrolled: 5-line block ×3, first 2 shown]
	v_cndmask_b32_e32 v22, 0, v23, vcc
	v_add_u32_e32 v21, v21, v22
	v_bfe_i32 v23, v5, 4, 1
	v_cmp_lt_u32_e32 vcc, 31, v5
	v_mov_b32_dpp v22, v21 row_bcast:15 row_mask:0xf bank_mask:0xf
	v_and_b32_e32 v22, v23, v22
	v_add_u32_e32 v21, v21, v22
	s_nop 1
	v_mov_b32_dpp v22, v21 row_bcast:31 row_mask:0xf bank_mask:0xf
	v_cndmask_b32_e32 v22, 0, v22, vcc
	v_add_u32_e32 v21, v21, v22
	v_cmp_eq_u32_e32 vcc, 32, v0
	s_and_saveexec_b64 s[0:1], vcc
	s_cbranch_execz .LBB35_19
; %bb.18:
	v_mov_b32_e32 v0, 0
	ds_write_b32 v0, v21 offset:1056
.LBB35_19:
	s_or_b64 exec, exec, s[0:1]
	v_add_u32_e32 v0, -1, v5
	v_and_b32_e32 v22, 64, v5
	v_cmp_lt_i32_e32 vcc, v0, v22
	v_cndmask_b32_e32 v0, v0, v5, vcc
	v_lshlrev_b32_e32 v0, 2, v0
	ds_bpermute_b32 v0, v0, v21
	v_mov_b32_e32 v21, 0
	s_waitcnt lgkmcnt(0)
	; wave barrier
	s_waitcnt lgkmcnt(0)
	ds_read_b32 v21, v21 offset:1056
	v_cmp_ne_u32_e32 vcc, 0, v5
	v_cndmask_b32_e32 v0, 0, v0, vcc
	s_lshl_b64 s[0:1], s[6:7], 2
	s_add_u32 s0, s2, s0
	s_waitcnt lgkmcnt(0)
	v_lshl_add_u32 v0, v21, 16, v0
	v_add_u32_e32 v5, v0, v8
	v_add_u32_e32 v8, v5, v9
	;; [unrolled: 1-line block ×7, first 2 shown]
	ds_write2_b32 v20, v0, v5 offset1:1
	ds_write2_b32 v20, v8, v6 offset0:2 offset1:3
	ds_write2_b32 v20, v7, v2 offset0:4 offset1:5
	ds_write2_b32 v20, v3, v4 offset0:6 offset1:7
	s_waitcnt lgkmcnt(0)
	; wave barrier
	s_waitcnt lgkmcnt(0)
	ds_read_u16 v0, v14
	ds_read_u16 v2, v17
	;; [unrolled: 1-line block ×5, first 2 shown]
	s_waitcnt lgkmcnt(4)
	v_add_u32_sdwa v0, v0, v1 dst_sel:DWORD dst_unused:UNUSED_PAD src0_sel:DWORD src1_sel:WORD_0
	s_waitcnt lgkmcnt(3)
	v_add_u32_sdwa v1, v2, v15 dst_sel:DWORD dst_unused:UNUSED_PAD src0_sel:DWORD src1_sel:WORD_0
	;; [unrolled: 2-line block ×5, first 2 shown]
	s_addc_u32 s1, s3, s1
	v_lshlrev_b32_e32 v5, 2, v16
	global_store_dwordx4 v5, v[0:3], s[0:1]
	global_store_dword v5, v4, s[0:1] offset:16
	s_endpgm
	.section	.rodata,"a",@progbits
	.p2align	6, 0x0
	.amdhsa_kernel _Z11rank_kernelILj33ELj5ELj4ELb0EL18RadixRankAlgorithm1EdEvPKT4_Pijj
		.amdhsa_group_segment_fixed_size 1328
		.amdhsa_private_segment_fixed_size 0
		.amdhsa_kernarg_size 24
		.amdhsa_user_sgpr_count 6
		.amdhsa_user_sgpr_private_segment_buffer 1
		.amdhsa_user_sgpr_dispatch_ptr 0
		.amdhsa_user_sgpr_queue_ptr 0
		.amdhsa_user_sgpr_kernarg_segment_ptr 1
		.amdhsa_user_sgpr_dispatch_id 0
		.amdhsa_user_sgpr_flat_scratch_init 0
		.amdhsa_user_sgpr_kernarg_preload_length 0
		.amdhsa_user_sgpr_kernarg_preload_offset 0
		.amdhsa_user_sgpr_private_segment_size 0
		.amdhsa_uses_dynamic_stack 0
		.amdhsa_system_sgpr_private_segment_wavefront_offset 0
		.amdhsa_system_sgpr_workgroup_id_x 1
		.amdhsa_system_sgpr_workgroup_id_y 0
		.amdhsa_system_sgpr_workgroup_id_z 0
		.amdhsa_system_sgpr_workgroup_info 0
		.amdhsa_system_vgpr_workitem_id 0
		.amdhsa_next_free_vgpr 24
		.amdhsa_next_free_sgpr 15
		.amdhsa_accum_offset 24
		.amdhsa_reserve_vcc 1
		.amdhsa_reserve_flat_scratch 0
		.amdhsa_float_round_mode_32 0
		.amdhsa_float_round_mode_16_64 0
		.amdhsa_float_denorm_mode_32 3
		.amdhsa_float_denorm_mode_16_64 3
		.amdhsa_dx10_clamp 1
		.amdhsa_ieee_mode 1
		.amdhsa_fp16_overflow 0
		.amdhsa_tg_split 0
		.amdhsa_exception_fp_ieee_invalid_op 0
		.amdhsa_exception_fp_denorm_src 0
		.amdhsa_exception_fp_ieee_div_zero 0
		.amdhsa_exception_fp_ieee_overflow 0
		.amdhsa_exception_fp_ieee_underflow 0
		.amdhsa_exception_fp_ieee_inexact 0
		.amdhsa_exception_int_div_zero 0
	.end_amdhsa_kernel
	.section	.text._Z11rank_kernelILj33ELj5ELj4ELb0EL18RadixRankAlgorithm1EdEvPKT4_Pijj,"axG",@progbits,_Z11rank_kernelILj33ELj5ELj4ELb0EL18RadixRankAlgorithm1EdEvPKT4_Pijj,comdat
.Lfunc_end35:
	.size	_Z11rank_kernelILj33ELj5ELj4ELb0EL18RadixRankAlgorithm1EdEvPKT4_Pijj, .Lfunc_end35-_Z11rank_kernelILj33ELj5ELj4ELb0EL18RadixRankAlgorithm1EdEvPKT4_Pijj
                                        ; -- End function
	.section	.AMDGPU.csdata,"",@progbits
; Kernel info:
; codeLenInByte = 1556
; NumSgprs: 19
; NumVgprs: 24
; NumAgprs: 0
; TotalNumVgprs: 24
; ScratchSize: 0
; MemoryBound: 0
; FloatMode: 240
; IeeeMode: 1
; LDSByteSize: 1328 bytes/workgroup (compile time only)
; SGPRBlocks: 2
; VGPRBlocks: 2
; NumSGPRsForWavesPerEU: 19
; NumVGPRsForWavesPerEU: 24
; AccumOffset: 24
; Occupancy: 8
; WaveLimiterHint : 0
; COMPUTE_PGM_RSRC2:SCRATCH_EN: 0
; COMPUTE_PGM_RSRC2:USER_SGPR: 6
; COMPUTE_PGM_RSRC2:TRAP_HANDLER: 0
; COMPUTE_PGM_RSRC2:TGID_X_EN: 1
; COMPUTE_PGM_RSRC2:TGID_Y_EN: 0
; COMPUTE_PGM_RSRC2:TGID_Z_EN: 0
; COMPUTE_PGM_RSRC2:TIDIG_COMP_CNT: 0
; COMPUTE_PGM_RSRC3_GFX90A:ACCUM_OFFSET: 5
; COMPUTE_PGM_RSRC3_GFX90A:TG_SPLIT: 0
	.section	.text._Z11rank_kernelILj512ELj2ELj4ELb0EL18RadixRankAlgorithm1EfEvPKT4_Pijj,"axG",@progbits,_Z11rank_kernelILj512ELj2ELj4ELb0EL18RadixRankAlgorithm1EfEvPKT4_Pijj,comdat
	.protected	_Z11rank_kernelILj512ELj2ELj4ELb0EL18RadixRankAlgorithm1EfEvPKT4_Pijj ; -- Begin function _Z11rank_kernelILj512ELj2ELj4ELb0EL18RadixRankAlgorithm1EfEvPKT4_Pijj
	.globl	_Z11rank_kernelILj512ELj2ELj4ELb0EL18RadixRankAlgorithm1EfEvPKT4_Pijj
	.p2align	8
	.type	_Z11rank_kernelILj512ELj2ELj4ELb0EL18RadixRankAlgorithm1EfEvPKT4_Pijj,@function
_Z11rank_kernelILj512ELj2ELj4ELb0EL18RadixRankAlgorithm1EfEvPKT4_Pijj: ; @_Z11rank_kernelILj512ELj2ELj4ELb0EL18RadixRankAlgorithm1EfEvPKT4_Pijj
; %bb.0:
	s_load_dwordx4 s[0:3], s[4:5], 0x0
	s_lshl_b32 s6, s6, 10
	s_mov_b32 s7, 0
	s_lshl_b64 s[6:7], s[6:7], 2
	v_lshlrev_b32_e32 v1, 3, v0
	s_waitcnt lgkmcnt(0)
	s_add_u32 s0, s0, s6
	s_addc_u32 s1, s1, s7
	global_load_dwordx2 v[2:3], v1, s[0:1]
	v_lshlrev_b32_e32 v1, 2, v0
	v_mov_b32_e32 v5, 0
	v_or_b32_e32 v4, 0xa00, v0
	v_or_b32_e32 v6, 0x800, v0
	s_mov_b64 s[0:1], -1
	ds_write2st64_b32 v1, v5, v5 offset1:8
	ds_write2st64_b32 v1, v5, v5 offset0:16 offset1:24
	s_and_saveexec_b64 s[8:9], s[0:1]
	s_cbranch_execz .LBB36_2
; %bb.1:
	v_lshlrev_b32_e32 v6, 2, v6
	ds_write_b32 v6, v5
.LBB36_2:
	s_or_b64 exec, exec, s[8:9]
	s_and_saveexec_b64 s[8:9], s[0:1]
	s_cbranch_execz .LBB36_4
; %bb.3:
	v_lshlrev_b32_e32 v4, 2, v4
	v_mov_b32_e32 v5, 0
	ds_write_b32 v4, v5
.LBB36_4:
	s_or_b64 exec, exec, s[8:9]
	v_or_b32_e32 v4, 0xe00, v0
	v_or_b32_e32 v5, 0xc00, v0
	v_cmp_gt_u32_e64 s[0:1], 7, 6
	v_cmp_gt_u32_e64 s[10:11], 7, 5
	s_and_saveexec_b64 s[8:9], s[10:11]
	s_cbranch_execz .LBB36_6
; %bb.5:
	v_lshlrev_b32_e32 v5, 2, v5
	v_mov_b32_e32 v6, 0
	ds_write_b32 v5, v6
.LBB36_6:
	s_or_b64 exec, exec, s[8:9]
	s_and_saveexec_b64 s[8:9], s[0:1]
	s_cbranch_execz .LBB36_8
; %bb.7:
	v_lshlrev_b32_e32 v4, 2, v4
	v_mov_b32_e32 v5, 0
	ds_write_b32 v4, v5
.LBB36_8:
	s_or_b64 exec, exec, s[8:9]
	s_load_dwordx2 s[0:1], s[4:5], 0x10
	v_bfrev_b32_e32 v4, 1
	s_waitcnt vmcnt(0)
	v_cmp_lt_i32_e32 vcc, -1, v2
	v_cndmask_b32_e32 v5, -1, v4, vcc
	v_xor_b32_e32 v2, v5, v2
	s_waitcnt lgkmcnt(0)
	s_and_b32 s1, s1, 31
	s_cmp_eq_u32 s1, 0
	s_cselect_b64 s[4:5], -1, 0
	s_and_b32 s0, s0, 31
	s_brev_b32 s8, -2
	s_add_i32 s0, s0, s1
	v_cmp_ne_u32_e32 vcc, s8, v2
	s_sub_i32 s0, 32, s0
	v_cndmask_b32_e32 v2, v4, v2, vcc
	s_sub_i32 s1, 32, s1
	v_lshlrev_b32_e32 v2, s0, v2
	v_lshrrev_b32_e32 v2, s1, v2
	v_cndmask_b32_e64 v2, v2, 0, s[4:5]
	v_lshrrev_b32_e32 v5, 3, v2
	v_lshlrev_b32_e32 v2, 9, v2
	s_movk_i32 s9, 0xe00
	v_and_or_b32 v2, v2, s9, v0
	v_lshlrev_b32_e32 v2, 1, v2
	v_cmp_lt_i32_e32 vcc, -1, v3
	v_add_lshl_u32 v11, v2, v5, 1
	v_cndmask_b32_e32 v2, -1, v4, vcc
	ds_read_u16 v10, v11
	v_xor_b32_e32 v2, v2, v3
	v_cmp_ne_u32_e32 vcc, s8, v2
	v_cndmask_b32_e32 v2, v4, v2, vcc
	v_lshlrev_b32_e32 v2, s0, v2
	v_lshrrev_b32_e32 v2, s1, v2
	s_waitcnt lgkmcnt(0)
	v_add_u16_e32 v3, 1, v10
	v_cndmask_b32_e64 v2, v2, 0, s[4:5]
	ds_write_b16 v11, v3
	v_lshrrev_b32_e32 v3, 3, v2
	v_lshlrev_b32_e32 v2, 9, v2
	v_and_or_b32 v2, v2, s9, v0
	v_lshlrev_b32_e32 v2, 1, v2
	v_add_lshl_u32 v13, v2, v3, 1
	ds_read_u16 v12, v13
	v_lshlrev_b32_e32 v14, 5, v0
	s_waitcnt lgkmcnt(0)
	v_add_u16_e32 v2, 1, v12
	ds_write_b16 v13, v2
	s_waitcnt lgkmcnt(0)
	s_barrier
	ds_read2_b32 v[8:9], v14 offset1:1
	ds_read2_b32 v[6:7], v14 offset0:2 offset1:3
	ds_read2_b32 v[2:3], v14 offset0:4 offset1:5
	;; [unrolled: 1-line block ×3, first 2 shown]
	s_waitcnt lgkmcnt(3)
	v_add_u32_e32 v15, v9, v8
	s_waitcnt lgkmcnt(2)
	v_add3_u32 v15, v15, v6, v7
	s_waitcnt lgkmcnt(1)
	v_add3_u32 v15, v15, v2, v3
	;; [unrolled: 2-line block ×3, first 2 shown]
	v_mbcnt_lo_u32_b32 v5, -1, 0
	v_mbcnt_hi_u32_b32 v5, -1, v5
	v_and_b32_e32 v16, 15, v5
	v_mov_b32_dpp v17, v15 row_shr:1 row_mask:0xf bank_mask:0xf
	v_cmp_ne_u32_e32 vcc, 0, v16
	v_cndmask_b32_e32 v17, 0, v17, vcc
	v_add_u32_e32 v15, v17, v15
	v_cmp_lt_u32_e32 vcc, 1, v16
	s_nop 0
	v_mov_b32_dpp v17, v15 row_shr:2 row_mask:0xf bank_mask:0xf
	v_cndmask_b32_e32 v17, 0, v17, vcc
	v_add_u32_e32 v15, v15, v17
	v_cmp_lt_u32_e32 vcc, 3, v16
	s_nop 0
	v_mov_b32_dpp v17, v15 row_shr:4 row_mask:0xf bank_mask:0xf
	;; [unrolled: 5-line block ×3, first 2 shown]
	v_cndmask_b32_e32 v16, 0, v17, vcc
	v_add_u32_e32 v15, v15, v16
	v_bfe_i32 v17, v5, 4, 1
	v_cmp_lt_u32_e32 vcc, 31, v5
	v_mov_b32_dpp v16, v15 row_bcast:15 row_mask:0xf bank_mask:0xf
	v_and_b32_e32 v16, v17, v16
	v_add_u32_e32 v15, v15, v16
	v_or_b32_e32 v17, 63, v0
	s_nop 0
	v_mov_b32_dpp v16, v15 row_bcast:31 row_mask:0xf bank_mask:0xf
	v_cndmask_b32_e32 v16, 0, v16, vcc
	v_add_u32_e32 v16, v15, v16
	v_lshrrev_b32_e32 v15, 6, v0
	v_cmp_eq_u32_e32 vcc, v17, v0
	v_lshlrev_b32_e32 v17, 2, v15
	s_and_saveexec_b64 s[0:1], vcc
	s_cbranch_execz .LBB36_10
; %bb.9:
	ds_write_b32 v17, v16 offset:16384
.LBB36_10:
	s_or_b64 exec, exec, s[0:1]
	v_lshlrev_b32_e32 v15, 1, v0
	v_cmp_gt_u32_e32 vcc, 8, v0
	s_waitcnt lgkmcnt(0)
	s_barrier
	s_and_saveexec_b64 s[0:1], vcc
	s_cbranch_execz .LBB36_12
; %bb.11:
	ds_read_b32 v18, v1 offset:16384
	v_and_b32_e32 v19, 7, v5
	v_cmp_ne_u32_e32 vcc, 0, v19
	s_waitcnt lgkmcnt(0)
	v_mov_b32_dpp v20, v18 row_shr:1 row_mask:0xf bank_mask:0xf
	v_cndmask_b32_e32 v20, 0, v20, vcc
	v_add_u32_e32 v18, v20, v18
	v_cmp_lt_u32_e32 vcc, 1, v19
	s_nop 0
	v_mov_b32_dpp v20, v18 row_shr:2 row_mask:0xf bank_mask:0xf
	v_cndmask_b32_e32 v20, 0, v20, vcc
	v_add_u32_e32 v18, v18, v20
	v_cmp_lt_u32_e32 vcc, 3, v19
	s_nop 0
	v_mov_b32_dpp v20, v18 row_shr:4 row_mask:0xf bank_mask:0xf
	v_cndmask_b32_e32 v19, 0, v20, vcc
	v_add_u32_e32 v18, v18, v19
	ds_write_b32 v1, v18 offset:16384
.LBB36_12:
	s_or_b64 exec, exec, s[0:1]
	v_cmp_lt_u32_e32 vcc, 63, v0
	v_mov_b32_e32 v0, 0
	v_mov_b32_e32 v1, 0
	s_waitcnt lgkmcnt(0)
	s_barrier
	s_and_saveexec_b64 s[0:1], vcc
	s_cbranch_execz .LBB36_14
; %bb.13:
	ds_read_b32 v1, v17 offset:16380
.LBB36_14:
	s_or_b64 exec, exec, s[0:1]
	v_add_u32_e32 v17, -1, v5
	v_and_b32_e32 v18, 64, v5
	v_cmp_lt_i32_e32 vcc, v17, v18
	v_cndmask_b32_e32 v17, v17, v5, vcc
	s_waitcnt lgkmcnt(0)
	v_add_u32_e32 v16, v1, v16
	v_lshlrev_b32_e32 v17, 2, v17
	ds_bpermute_b32 v16, v17, v16
	ds_read_b32 v0, v0 offset:16412
	v_cmp_eq_u32_e32 vcc, 0, v5
	s_add_u32 s0, s2, s6
	s_addc_u32 s1, s3, s7
	s_waitcnt lgkmcnt(1)
	v_cndmask_b32_e32 v1, v16, v1, vcc
	s_waitcnt lgkmcnt(0)
	v_lshl_add_u32 v0, v0, 16, v1
	v_add_u32_e32 v1, v0, v8
	v_add_u32_e32 v5, v1, v9
	;; [unrolled: 1-line block ×7, first 2 shown]
	ds_write2_b32 v14, v0, v1 offset1:1
	ds_write2_b32 v14, v5, v6 offset0:2 offset1:3
	ds_write2_b32 v14, v7, v2 offset0:4 offset1:5
	ds_write2_b32 v14, v3, v4 offset0:6 offset1:7
	s_waitcnt lgkmcnt(0)
	s_barrier
	ds_read_u16 v0, v11
	ds_read_u16 v1, v13
	v_lshlrev_b32_e32 v2, 2, v15
	s_waitcnt lgkmcnt(1)
	v_add_u32_sdwa v0, v0, v10 dst_sel:DWORD dst_unused:UNUSED_PAD src0_sel:DWORD src1_sel:WORD_0
	s_waitcnt lgkmcnt(0)
	v_add_u32_sdwa v1, v1, v12 dst_sel:DWORD dst_unused:UNUSED_PAD src0_sel:DWORD src1_sel:WORD_0
	global_store_dwordx2 v2, v[0:1], s[0:1]
	s_endpgm
	.section	.rodata,"a",@progbits
	.p2align	6, 0x0
	.amdhsa_kernel _Z11rank_kernelILj512ELj2ELj4ELb0EL18RadixRankAlgorithm1EfEvPKT4_Pijj
		.amdhsa_group_segment_fixed_size 16416
		.amdhsa_private_segment_fixed_size 0
		.amdhsa_kernarg_size 24
		.amdhsa_user_sgpr_count 6
		.amdhsa_user_sgpr_private_segment_buffer 1
		.amdhsa_user_sgpr_dispatch_ptr 0
		.amdhsa_user_sgpr_queue_ptr 0
		.amdhsa_user_sgpr_kernarg_segment_ptr 1
		.amdhsa_user_sgpr_dispatch_id 0
		.amdhsa_user_sgpr_flat_scratch_init 0
		.amdhsa_user_sgpr_kernarg_preload_length 0
		.amdhsa_user_sgpr_kernarg_preload_offset 0
		.amdhsa_user_sgpr_private_segment_size 0
		.amdhsa_uses_dynamic_stack 0
		.amdhsa_system_sgpr_private_segment_wavefront_offset 0
		.amdhsa_system_sgpr_workgroup_id_x 1
		.amdhsa_system_sgpr_workgroup_id_y 0
		.amdhsa_system_sgpr_workgroup_id_z 0
		.amdhsa_system_sgpr_workgroup_info 0
		.amdhsa_system_vgpr_workitem_id 0
		.amdhsa_next_free_vgpr 21
		.amdhsa_next_free_sgpr 12
		.amdhsa_accum_offset 24
		.amdhsa_reserve_vcc 1
		.amdhsa_reserve_flat_scratch 0
		.amdhsa_float_round_mode_32 0
		.amdhsa_float_round_mode_16_64 0
		.amdhsa_float_denorm_mode_32 3
		.amdhsa_float_denorm_mode_16_64 3
		.amdhsa_dx10_clamp 1
		.amdhsa_ieee_mode 1
		.amdhsa_fp16_overflow 0
		.amdhsa_tg_split 0
		.amdhsa_exception_fp_ieee_invalid_op 0
		.amdhsa_exception_fp_denorm_src 0
		.amdhsa_exception_fp_ieee_div_zero 0
		.amdhsa_exception_fp_ieee_overflow 0
		.amdhsa_exception_fp_ieee_underflow 0
		.amdhsa_exception_fp_ieee_inexact 0
		.amdhsa_exception_int_div_zero 0
	.end_amdhsa_kernel
	.section	.text._Z11rank_kernelILj512ELj2ELj4ELb0EL18RadixRankAlgorithm1EfEvPKT4_Pijj,"axG",@progbits,_Z11rank_kernelILj512ELj2ELj4ELb0EL18RadixRankAlgorithm1EfEvPKT4_Pijj,comdat
.Lfunc_end36:
	.size	_Z11rank_kernelILj512ELj2ELj4ELb0EL18RadixRankAlgorithm1EfEvPKT4_Pijj, .Lfunc_end36-_Z11rank_kernelILj512ELj2ELj4ELb0EL18RadixRankAlgorithm1EfEvPKT4_Pijj
                                        ; -- End function
	.section	.AMDGPU.csdata,"",@progbits
; Kernel info:
; codeLenInByte = 1104
; NumSgprs: 16
; NumVgprs: 21
; NumAgprs: 0
; TotalNumVgprs: 21
; ScratchSize: 0
; MemoryBound: 0
; FloatMode: 240
; IeeeMode: 1
; LDSByteSize: 16416 bytes/workgroup (compile time only)
; SGPRBlocks: 1
; VGPRBlocks: 2
; NumSGPRsForWavesPerEU: 16
; NumVGPRsForWavesPerEU: 21
; AccumOffset: 24
; Occupancy: 6
; WaveLimiterHint : 0
; COMPUTE_PGM_RSRC2:SCRATCH_EN: 0
; COMPUTE_PGM_RSRC2:USER_SGPR: 6
; COMPUTE_PGM_RSRC2:TRAP_HANDLER: 0
; COMPUTE_PGM_RSRC2:TGID_X_EN: 1
; COMPUTE_PGM_RSRC2:TGID_Y_EN: 0
; COMPUTE_PGM_RSRC2:TGID_Z_EN: 0
; COMPUTE_PGM_RSRC2:TIDIG_COMP_CNT: 0
; COMPUTE_PGM_RSRC3_GFX90A:ACCUM_OFFSET: 5
; COMPUTE_PGM_RSRC3_GFX90A:TG_SPLIT: 0
	.section	.text._Z11rank_kernelILj256ELj7ELj4ELb0EL18RadixRankAlgorithm1EtEvPKT4_Pijj,"axG",@progbits,_Z11rank_kernelILj256ELj7ELj4ELb0EL18RadixRankAlgorithm1EtEvPKT4_Pijj,comdat
	.protected	_Z11rank_kernelILj256ELj7ELj4ELb0EL18RadixRankAlgorithm1EtEvPKT4_Pijj ; -- Begin function _Z11rank_kernelILj256ELj7ELj4ELb0EL18RadixRankAlgorithm1EtEvPKT4_Pijj
	.globl	_Z11rank_kernelILj256ELj7ELj4ELb0EL18RadixRankAlgorithm1EtEvPKT4_Pijj
	.p2align	8
	.type	_Z11rank_kernelILj256ELj7ELj4ELb0EL18RadixRankAlgorithm1EtEvPKT4_Pijj,@function
_Z11rank_kernelILj256ELj7ELj4ELb0EL18RadixRankAlgorithm1EtEvPKT4_Pijj: ; @_Z11rank_kernelILj256ELj7ELj4ELb0EL18RadixRankAlgorithm1EtEvPKT4_Pijj
; %bb.0:
	s_load_dwordx4 s[0:3], s[4:5], 0x0
	s_mulk_i32 s6, 0x700
	s_mov_b32 s7, 0
	s_lshl_b64 s[8:9], s[6:7], 1
	v_mul_u32_u24_e32 v2, 7, v0
	s_waitcnt lgkmcnt(0)
	s_add_u32 s0, s0, s8
	s_addc_u32 s1, s1, s9
	v_lshlrev_b32_e32 v1, 1, v2
	global_load_dwordx3 v[4:6], v1, s[0:1]
	global_load_ushort v3, v1, s[0:1] offset:12
	v_or_b32_e32 v1, 0x100, v0
	v_mov_b32_e32 v7, 0
	s_mov_b64 s[0:1], 0
	s_mov_b32 s12, s7
	v_pk_mov_b32 v[8:9], v[0:1], v[0:1] op_sel:[0,1]
	s_branch .LBB37_2
.LBB37_1:                               ;   in Loop: Header=BB37_2 Depth=1
	s_or_b64 exec, exec, s[10:11]
	s_add_i32 s12, s12, 2
	v_cmp_eq_u32_e64 s[8:9], 8, s12
	v_add_u32_e32 v9, 0x200, v9
	s_or_b64 s[0:1], s[8:9], s[0:1]
	v_add_u32_e32 v8, 0x200, v8
	s_andn2_b64 exec, exec, s[0:1]
	s_cbranch_execz .LBB37_6
.LBB37_2:                               ; =>This Inner Loop Header: Depth=1
	s_or_b32 s8, s12, 1
	v_cmp_le_u32_e64 s[8:9], s8, 7
	v_cmp_le_u32_e64 s[14:15], s12, 7
	s_and_saveexec_b64 s[10:11], s[14:15]
	s_cbranch_execz .LBB37_4
; %bb.3:                                ;   in Loop: Header=BB37_2 Depth=1
	v_lshlrev_b32_e32 v1, 2, v8
	ds_write_b32 v1, v7
.LBB37_4:                               ;   in Loop: Header=BB37_2 Depth=1
	s_or_b64 exec, exec, s[10:11]
	s_and_saveexec_b64 s[10:11], s[8:9]
	s_cbranch_execz .LBB37_1
; %bb.5:                                ;   in Loop: Header=BB37_2 Depth=1
	v_lshlrev_b32_e32 v1, 2, v9
	ds_write_b32 v1, v7
	s_branch .LBB37_1
.LBB37_6:
	s_or_b64 exec, exec, s[0:1]
	s_load_dwordx2 s[0:1], s[4:5], 0x10
	s_movk_i32 s8, 0x700
	v_lshlrev_b32_e32 v24, 5, v0
	s_waitcnt lgkmcnt(0)
	s_and_b32 s1, s1, 31
	s_cmp_eq_u32 s1, 0
	s_cselect_b64 s[4:5], -1, 0
	s_and_b32 s0, s0, 31
	s_add_i32 s0, s0, s1
	s_sub_i32 s0, 32, s0
	s_sub_i32 s9, 32, s1
	s_waitcnt vmcnt(1)
	v_lshlrev_b32_sdwa v1, s0, v4 dst_sel:DWORD dst_unused:UNUSED_PAD src0_sel:DWORD src1_sel:WORD_0
	v_bfe_u32 v1, v1, s9, 16
	v_cndmask_b32_e64 v1, v1, 0, s[4:5]
	v_lshrrev_b32_e32 v7, 3, v1
	v_lshlrev_b32_e32 v1, 8, v1
	v_and_or_b32 v1, v1, s8, v0
	v_lshlrev_b32_e32 v1, 1, v1
	v_add_lshl_u32 v12, v1, v7, 1
	ds_read_u16 v1, v12
	v_lshlrev_b32_sdwa v4, s0, v4 dst_sel:DWORD dst_unused:UNUSED_PAD src0_sel:DWORD src1_sel:WORD_1
	v_bfe_u32 v4, v4, s9, 16
	v_cndmask_b32_e64 v4, v4, 0, s[4:5]
	v_lshrrev_b32_e32 v7, 3, v4
	v_lshlrev_b32_e32 v4, 8, v4
	v_and_or_b32 v4, v4, s8, v0
	s_waitcnt lgkmcnt(0)
	v_add_u16_e32 v8, 1, v1
	v_lshlrev_b32_e32 v4, 1, v4
	ds_write_b16 v12, v8
	v_add_lshl_u32 v15, v4, v7, 1
	ds_read_u16 v13, v15
	s_waitcnt vmcnt(0)
	v_lshlrev_b32_sdwa v3, s0, v3 dst_sel:DWORD dst_unused:UNUSED_PAD src0_sel:DWORD src1_sel:WORD_0
	v_bfe_u32 v3, v3, s9, 16
	v_cndmask_b32_e64 v3, v3, 0, s[4:5]
	s_waitcnt lgkmcnt(0)
	v_add_u16_e32 v4, 1, v13
	ds_write_b16 v15, v4
	v_lshlrev_b32_sdwa v4, s0, v5 dst_sel:DWORD dst_unused:UNUSED_PAD src0_sel:DWORD src1_sel:WORD_0
	v_bfe_u32 v4, v4, s9, 16
	v_cndmask_b32_e64 v4, v4, 0, s[4:5]
	v_lshrrev_b32_e32 v7, 3, v4
	v_lshlrev_b32_e32 v4, 8, v4
	v_and_or_b32 v4, v4, s8, v0
	v_lshlrev_b32_e32 v4, 1, v4
	v_add_lshl_u32 v16, v4, v7, 1
	ds_read_u16 v14, v16
	s_waitcnt lgkmcnt(0)
	v_add_u16_e32 v4, 1, v14
	ds_write_b16 v16, v4
	v_lshlrev_b32_sdwa v4, s0, v5 dst_sel:DWORD dst_unused:UNUSED_PAD src0_sel:DWORD src1_sel:WORD_1
	v_bfe_u32 v4, v4, s9, 16
	v_cndmask_b32_e64 v4, v4, 0, s[4:5]
	v_lshrrev_b32_e32 v5, 3, v4
	v_lshlrev_b32_e32 v4, 8, v4
	v_and_or_b32 v4, v4, s8, v0
	v_lshlrev_b32_e32 v4, 1, v4
	v_add_lshl_u32 v18, v4, v5, 1
	ds_read_u16 v17, v18
	s_waitcnt lgkmcnt(0)
	v_add_u16_e32 v4, 1, v17
	ds_write_b16 v18, v4
	v_lshlrev_b32_sdwa v4, s0, v6 dst_sel:DWORD dst_unused:UNUSED_PAD src0_sel:DWORD src1_sel:WORD_0
	v_bfe_u32 v4, v4, s9, 16
	v_cndmask_b32_e64 v4, v4, 0, s[4:5]
	v_lshrrev_b32_e32 v5, 3, v4
	v_lshlrev_b32_e32 v4, 8, v4
	v_and_or_b32 v4, v4, s8, v0
	v_lshlrev_b32_e32 v4, 1, v4
	v_add_lshl_u32 v20, v4, v5, 1
	ds_read_u16 v19, v20
	s_waitcnt lgkmcnt(0)
	v_add_u16_e32 v4, 1, v19
	ds_write_b16 v20, v4
	v_lshlrev_b32_sdwa v4, s0, v6 dst_sel:DWORD dst_unused:UNUSED_PAD src0_sel:DWORD src1_sel:WORD_1
	v_bfe_u32 v4, v4, s9, 16
	v_cndmask_b32_e64 v4, v4, 0, s[4:5]
	v_lshrrev_b32_e32 v5, 3, v4
	v_lshlrev_b32_e32 v4, 8, v4
	v_and_or_b32 v4, v4, s8, v0
	v_lshlrev_b32_e32 v4, 1, v4
	v_add_lshl_u32 v22, v4, v5, 1
	ds_read_u16 v21, v22
	s_waitcnt lgkmcnt(0)
	v_add_u16_e32 v4, 1, v21
	ds_write_b16 v22, v4
	v_lshrrev_b32_e32 v4, 3, v3
	v_lshlrev_b32_e32 v3, 8, v3
	v_and_or_b32 v3, v3, s8, v0
	v_lshlrev_b32_e32 v3, 1, v3
	v_add_lshl_u32 v23, v3, v4, 1
	ds_read_u16 v3, v23
	s_waitcnt lgkmcnt(0)
	v_add_u16_e32 v4, 1, v3
	ds_write_b16 v23, v4
	s_waitcnt lgkmcnt(0)
	s_barrier
	ds_read2_b32 v[10:11], v24 offset1:1
	ds_read2_b32 v[8:9], v24 offset0:2 offset1:3
	ds_read2_b32 v[4:5], v24 offset0:4 offset1:5
	;; [unrolled: 1-line block ×3, first 2 shown]
	s_waitcnt lgkmcnt(3)
	v_add_u32_e32 v25, v11, v10
	s_waitcnt lgkmcnt(2)
	v_add3_u32 v25, v25, v8, v9
	s_waitcnt lgkmcnt(1)
	v_add3_u32 v25, v25, v4, v5
	;; [unrolled: 2-line block ×3, first 2 shown]
	v_mbcnt_lo_u32_b32 v7, -1, 0
	v_mbcnt_hi_u32_b32 v7, -1, v7
	v_and_b32_e32 v26, 15, v7
	v_mov_b32_dpp v27, v25 row_shr:1 row_mask:0xf bank_mask:0xf
	v_cmp_ne_u32_e32 vcc, 0, v26
	v_cndmask_b32_e32 v27, 0, v27, vcc
	v_add_u32_e32 v25, v27, v25
	v_cmp_lt_u32_e32 vcc, 1, v26
	s_nop 0
	v_mov_b32_dpp v27, v25 row_shr:2 row_mask:0xf bank_mask:0xf
	v_cndmask_b32_e32 v27, 0, v27, vcc
	v_add_u32_e32 v25, v25, v27
	v_cmp_lt_u32_e32 vcc, 3, v26
	s_nop 0
	v_mov_b32_dpp v27, v25 row_shr:4 row_mask:0xf bank_mask:0xf
	;; [unrolled: 5-line block ×3, first 2 shown]
	v_cndmask_b32_e32 v26, 0, v27, vcc
	v_add_u32_e32 v25, v25, v26
	v_bfe_i32 v27, v7, 4, 1
	v_cmp_lt_u32_e32 vcc, 31, v7
	v_mov_b32_dpp v26, v25 row_bcast:15 row_mask:0xf bank_mask:0xf
	v_and_b32_e32 v26, v27, v26
	v_add_u32_e32 v25, v25, v26
	v_or_b32_e32 v27, 63, v0
	s_nop 0
	v_mov_b32_dpp v26, v25 row_bcast:31 row_mask:0xf bank_mask:0xf
	v_cndmask_b32_e32 v26, 0, v26, vcc
	v_add_u32_e32 v25, v25, v26
	v_lshrrev_b32_e32 v26, 6, v0
	v_cmp_eq_u32_e32 vcc, v27, v0
	v_lshlrev_b32_e32 v26, 2, v26
	s_and_saveexec_b64 s[0:1], vcc
	s_cbranch_execz .LBB37_8
; %bb.7:
	ds_write_b32 v26, v25 offset:8192
.LBB37_8:
	s_or_b64 exec, exec, s[0:1]
	v_cmp_gt_u32_e32 vcc, 4, v0
	s_waitcnt lgkmcnt(0)
	s_barrier
	s_and_saveexec_b64 s[0:1], vcc
	s_cbranch_execz .LBB37_10
; %bb.9:
	v_lshlrev_b32_e32 v27, 2, v0
	ds_read_b32 v28, v27 offset:8192
	v_and_b32_e32 v29, 3, v7
	v_cmp_ne_u32_e32 vcc, 0, v29
	s_waitcnt lgkmcnt(0)
	v_mov_b32_dpp v30, v28 row_shr:1 row_mask:0xf bank_mask:0xf
	v_cndmask_b32_e32 v30, 0, v30, vcc
	v_add_u32_e32 v28, v30, v28
	v_cmp_lt_u32_e32 vcc, 1, v29
	s_nop 0
	v_mov_b32_dpp v30, v28 row_shr:2 row_mask:0xf bank_mask:0xf
	v_cndmask_b32_e32 v29, 0, v30, vcc
	v_add_u32_e32 v28, v28, v29
	ds_write_b32 v27, v28 offset:8192
.LBB37_10:
	s_or_b64 exec, exec, s[0:1]
	v_cmp_lt_u32_e32 vcc, 63, v0
	v_mov_b32_e32 v0, 0
	v_mov_b32_e32 v27, 0
	s_waitcnt lgkmcnt(0)
	s_barrier
	s_and_saveexec_b64 s[0:1], vcc
	s_cbranch_execz .LBB37_12
; %bb.11:
	ds_read_b32 v27, v26 offset:8188
.LBB37_12:
	s_or_b64 exec, exec, s[0:1]
	v_add_u32_e32 v26, -1, v7
	v_and_b32_e32 v28, 64, v7
	v_cmp_lt_i32_e32 vcc, v26, v28
	v_cndmask_b32_e32 v26, v26, v7, vcc
	s_waitcnt lgkmcnt(0)
	v_add_u32_e32 v25, v27, v25
	v_lshlrev_b32_e32 v26, 2, v26
	ds_bpermute_b32 v25, v26, v25
	ds_read_b32 v0, v0 offset:8204
	v_cmp_eq_u32_e32 vcc, 0, v7
	s_lshl_b64 s[0:1], s[6:7], 2
	s_add_u32 s0, s2, s0
	s_waitcnt lgkmcnt(1)
	v_cndmask_b32_e32 v7, v25, v27, vcc
	s_waitcnt lgkmcnt(0)
	v_lshl_add_u32 v0, v0, 16, v7
	v_add_u32_e32 v7, v0, v10
	v_add_u32_e32 v10, v7, v11
	v_add_u32_e32 v8, v10, v8
	v_add_u32_e32 v9, v8, v9
	v_add_u32_e32 v4, v9, v4
	v_add_u32_e32 v5, v4, v5
	v_add_u32_e32 v6, v5, v6
	ds_write2_b32 v24, v0, v7 offset1:1
	ds_write2_b32 v24, v10, v8 offset0:2 offset1:3
	ds_write2_b32 v24, v9, v4 offset0:4 offset1:5
	;; [unrolled: 1-line block ×3, first 2 shown]
	s_waitcnt lgkmcnt(0)
	s_barrier
	ds_read_u16 v0, v12
	ds_read_u16 v5, v15
	;; [unrolled: 1-line block ×7, first 2 shown]
	s_waitcnt lgkmcnt(6)
	v_add_u32_sdwa v4, v0, v1 dst_sel:DWORD dst_unused:UNUSED_PAD src0_sel:DWORD src1_sel:WORD_0
	s_waitcnt lgkmcnt(5)
	v_add_u32_sdwa v5, v5, v13 dst_sel:DWORD dst_unused:UNUSED_PAD src0_sel:DWORD src1_sel:WORD_0
	;; [unrolled: 2-line block ×4, first 2 shown]
	s_addc_u32 s1, s3, s1
	v_lshlrev_b32_e32 v0, 2, v2
	s_waitcnt lgkmcnt(2)
	v_add_u32_sdwa v8, v8, v19 dst_sel:DWORD dst_unused:UNUSED_PAD src0_sel:DWORD src1_sel:WORD_0
	s_waitcnt lgkmcnt(1)
	v_add_u32_sdwa v9, v9, v21 dst_sel:DWORD dst_unused:UNUSED_PAD src0_sel:DWORD src1_sel:WORD_0
	;; [unrolled: 2-line block ×3, first 2 shown]
	global_store_dwordx4 v0, v[4:7], s[0:1]
	global_store_dwordx3 v0, v[8:10], s[0:1] offset:16
	s_endpgm
	.section	.rodata,"a",@progbits
	.p2align	6, 0x0
	.amdhsa_kernel _Z11rank_kernelILj256ELj7ELj4ELb0EL18RadixRankAlgorithm1EtEvPKT4_Pijj
		.amdhsa_group_segment_fixed_size 8208
		.amdhsa_private_segment_fixed_size 0
		.amdhsa_kernarg_size 24
		.amdhsa_user_sgpr_count 6
		.amdhsa_user_sgpr_private_segment_buffer 1
		.amdhsa_user_sgpr_dispatch_ptr 0
		.amdhsa_user_sgpr_queue_ptr 0
		.amdhsa_user_sgpr_kernarg_segment_ptr 1
		.amdhsa_user_sgpr_dispatch_id 0
		.amdhsa_user_sgpr_flat_scratch_init 0
		.amdhsa_user_sgpr_kernarg_preload_length 0
		.amdhsa_user_sgpr_kernarg_preload_offset 0
		.amdhsa_user_sgpr_private_segment_size 0
		.amdhsa_uses_dynamic_stack 0
		.amdhsa_system_sgpr_private_segment_wavefront_offset 0
		.amdhsa_system_sgpr_workgroup_id_x 1
		.amdhsa_system_sgpr_workgroup_id_y 0
		.amdhsa_system_sgpr_workgroup_id_z 0
		.amdhsa_system_sgpr_workgroup_info 0
		.amdhsa_system_vgpr_workitem_id 0
		.amdhsa_next_free_vgpr 31
		.amdhsa_next_free_sgpr 16
		.amdhsa_accum_offset 32
		.amdhsa_reserve_vcc 1
		.amdhsa_reserve_flat_scratch 0
		.amdhsa_float_round_mode_32 0
		.amdhsa_float_round_mode_16_64 0
		.amdhsa_float_denorm_mode_32 3
		.amdhsa_float_denorm_mode_16_64 3
		.amdhsa_dx10_clamp 1
		.amdhsa_ieee_mode 1
		.amdhsa_fp16_overflow 0
		.amdhsa_tg_split 0
		.amdhsa_exception_fp_ieee_invalid_op 0
		.amdhsa_exception_fp_denorm_src 0
		.amdhsa_exception_fp_ieee_div_zero 0
		.amdhsa_exception_fp_ieee_overflow 0
		.amdhsa_exception_fp_ieee_underflow 0
		.amdhsa_exception_fp_ieee_inexact 0
		.amdhsa_exception_int_div_zero 0
	.end_amdhsa_kernel
	.section	.text._Z11rank_kernelILj256ELj7ELj4ELb0EL18RadixRankAlgorithm1EtEvPKT4_Pijj,"axG",@progbits,_Z11rank_kernelILj256ELj7ELj4ELb0EL18RadixRankAlgorithm1EtEvPKT4_Pijj,comdat
.Lfunc_end37:
	.size	_Z11rank_kernelILj256ELj7ELj4ELb0EL18RadixRankAlgorithm1EtEvPKT4_Pijj, .Lfunc_end37-_Z11rank_kernelILj256ELj7ELj4ELb0EL18RadixRankAlgorithm1EtEvPKT4_Pijj
                                        ; -- End function
	.section	.AMDGPU.csdata,"",@progbits
; Kernel info:
; codeLenInByte = 1520
; NumSgprs: 20
; NumVgprs: 31
; NumAgprs: 0
; TotalNumVgprs: 31
; ScratchSize: 0
; MemoryBound: 0
; FloatMode: 240
; IeeeMode: 1
; LDSByteSize: 8208 bytes/workgroup (compile time only)
; SGPRBlocks: 2
; VGPRBlocks: 3
; NumSGPRsForWavesPerEU: 20
; NumVGPRsForWavesPerEU: 31
; AccumOffset: 32
; Occupancy: 7
; WaveLimiterHint : 0
; COMPUTE_PGM_RSRC2:SCRATCH_EN: 0
; COMPUTE_PGM_RSRC2:USER_SGPR: 6
; COMPUTE_PGM_RSRC2:TRAP_HANDLER: 0
; COMPUTE_PGM_RSRC2:TGID_X_EN: 1
; COMPUTE_PGM_RSRC2:TGID_Y_EN: 0
; COMPUTE_PGM_RSRC2:TGID_Z_EN: 0
; COMPUTE_PGM_RSRC2:TIDIG_COMP_CNT: 0
; COMPUTE_PGM_RSRC3_GFX90A:ACCUM_OFFSET: 7
; COMPUTE_PGM_RSRC3_GFX90A:TG_SPLIT: 0
	.section	.text._Z11rank_kernelILj128ELj4ELj4ELb0EL18RadixRankAlgorithm1EiEvPKT4_Pijj,"axG",@progbits,_Z11rank_kernelILj128ELj4ELj4ELb0EL18RadixRankAlgorithm1EiEvPKT4_Pijj,comdat
	.protected	_Z11rank_kernelILj128ELj4ELj4ELb0EL18RadixRankAlgorithm1EiEvPKT4_Pijj ; -- Begin function _Z11rank_kernelILj128ELj4ELj4ELb0EL18RadixRankAlgorithm1EiEvPKT4_Pijj
	.globl	_Z11rank_kernelILj128ELj4ELj4ELb0EL18RadixRankAlgorithm1EiEvPKT4_Pijj
	.p2align	8
	.type	_Z11rank_kernelILj128ELj4ELj4ELb0EL18RadixRankAlgorithm1EiEvPKT4_Pijj,@function
_Z11rank_kernelILj128ELj4ELj4ELb0EL18RadixRankAlgorithm1EiEvPKT4_Pijj: ; @_Z11rank_kernelILj128ELj4ELj4ELb0EL18RadixRankAlgorithm1EiEvPKT4_Pijj
; %bb.0:
	s_load_dwordx4 s[0:3], s[4:5], 0x0
	s_lshl_b32 s8, s6, 9
	s_mov_b32 s9, 0
	s_lshl_b64 s[6:7], s[8:9], 2
	v_lshlrev_b32_e32 v1, 4, v0
	s_waitcnt lgkmcnt(0)
	s_add_u32 s0, s0, s6
	s_addc_u32 s1, s1, s7
	global_load_dwordx4 v[2:5], v1, s[0:1]
	v_or_b32_e32 v1, 0x80, v0
	v_lshlrev_b32_e32 v6, 2, v0
	v_mov_b32_e32 v7, 0
	s_mov_b64 s[0:1], 0
	v_pk_mov_b32 v[8:9], v[0:1], v[0:1] op_sel:[0,1]
	s_branch .LBB38_2
.LBB38_1:                               ;   in Loop: Header=BB38_2 Depth=1
	s_or_b64 exec, exec, s[12:13]
	s_add_i32 s9, s9, 2
	v_cmp_eq_u32_e64 s[10:11], 8, s9
	v_add_u32_e32 v9, 0x100, v9
	s_or_b64 s[0:1], s[10:11], s[0:1]
	v_add_u32_e32 v8, 0x100, v8
	s_andn2_b64 exec, exec, s[0:1]
	s_cbranch_execz .LBB38_6
.LBB38_2:                               ; =>This Inner Loop Header: Depth=1
	s_or_b32 s8, s9, 1
	v_cmp_le_u32_e64 s[10:11], s8, 7
	v_cmp_le_u32_e64 s[14:15], s9, 7
	s_and_saveexec_b64 s[12:13], s[14:15]
	s_cbranch_execz .LBB38_4
; %bb.3:                                ;   in Loop: Header=BB38_2 Depth=1
	v_lshlrev_b32_e32 v1, 2, v8
	ds_write_b32 v1, v7
.LBB38_4:                               ;   in Loop: Header=BB38_2 Depth=1
	s_or_b64 exec, exec, s[12:13]
	s_and_saveexec_b64 s[12:13], s[10:11]
	s_cbranch_execz .LBB38_1
; %bb.5:                                ;   in Loop: Header=BB38_2 Depth=1
	v_lshlrev_b32_e32 v1, 2, v9
	ds_write_b32 v1, v7
	s_branch .LBB38_1
.LBB38_6:
	s_or_b64 exec, exec, s[0:1]
	s_load_dwordx2 s[0:1], s[4:5], 0x10
	s_waitcnt vmcnt(0)
	v_xor_b32_e32 v1, 0x80000000, v2
	v_lshlrev_b32_e32 v18, 5, v0
	s_waitcnt lgkmcnt(0)
	s_and_b32 s1, s1, 31
	s_cmp_eq_u32 s1, 0
	s_cselect_b64 s[4:5], -1, 0
	s_and_b32 s0, s0, 31
	s_add_i32 s0, s0, s1
	s_sub_i32 s0, 32, s0
	s_sub_i32 s8, 32, s1
	v_lshlrev_b32_e32 v1, s0, v1
	v_lshrrev_b32_e32 v1, s8, v1
	v_cndmask_b32_e64 v1, v1, 0, s[4:5]
	v_lshrrev_b32_e32 v2, 3, v1
	v_lshlrev_b32_e32 v1, 7, v1
	s_movk_i32 s1, 0x380
	v_and_or_b32 v1, v1, s1, v0
	v_lshlrev_b32_e32 v1, 1, v1
	v_add_lshl_u32 v7, v1, v2, 1
	ds_read_u16 v1, v7
	v_xor_b32_e32 v2, 0x80000000, v3
	v_lshlrev_b32_e32 v2, s0, v2
	v_lshrrev_b32_e32 v2, s8, v2
	v_cndmask_b32_e64 v2, v2, 0, s[4:5]
	s_waitcnt lgkmcnt(0)
	v_add_u16_e32 v3, 1, v1
	ds_write_b16 v7, v3
	v_lshrrev_b32_e32 v3, 3, v2
	v_lshlrev_b32_e32 v2, 7, v2
	v_and_or_b32 v2, v2, s1, v0
	v_lshlrev_b32_e32 v2, 1, v2
	v_add_lshl_u32 v13, v2, v3, 1
	ds_read_u16 v12, v13
	v_xor_b32_e32 v2, 0x80000000, v4
	v_lshlrev_b32_e32 v2, s0, v2
	v_lshrrev_b32_e32 v2, s8, v2
	v_cndmask_b32_e64 v2, v2, 0, s[4:5]
	s_waitcnt lgkmcnt(0)
	v_add_u16_e32 v3, 1, v12
	ds_write_b16 v13, v3
	v_lshrrev_b32_e32 v3, 3, v2
	v_lshlrev_b32_e32 v2, 7, v2
	;; [unrolled: 13-line block ×3, first 2 shown]
	v_and_or_b32 v2, v2, s1, v0
	v_lshlrev_b32_e32 v2, 1, v2
	v_add_lshl_u32 v17, v2, v3, 1
	ds_read_u16 v16, v17
	s_waitcnt lgkmcnt(0)
	v_add_u16_e32 v2, 1, v16
	ds_write_b16 v17, v2
	s_waitcnt lgkmcnt(0)
	s_barrier
	ds_read2_b32 v[10:11], v18 offset1:1
	ds_read2_b32 v[8:9], v18 offset0:2 offset1:3
	ds_read2_b32 v[2:3], v18 offset0:4 offset1:5
	;; [unrolled: 1-line block ×3, first 2 shown]
	s_waitcnt lgkmcnt(3)
	v_add_u32_e32 v19, v11, v10
	s_waitcnt lgkmcnt(2)
	v_add3_u32 v19, v19, v8, v9
	s_waitcnt lgkmcnt(1)
	v_add3_u32 v19, v19, v2, v3
	;; [unrolled: 2-line block ×3, first 2 shown]
	v_mbcnt_lo_u32_b32 v5, -1, 0
	v_mbcnt_hi_u32_b32 v5, -1, v5
	v_and_b32_e32 v20, 15, v5
	v_mov_b32_dpp v21, v19 row_shr:1 row_mask:0xf bank_mask:0xf
	v_cmp_ne_u32_e32 vcc, 0, v20
	v_cndmask_b32_e32 v21, 0, v21, vcc
	v_add_u32_e32 v19, v21, v19
	v_cmp_lt_u32_e32 vcc, 1, v20
	s_nop 0
	v_mov_b32_dpp v21, v19 row_shr:2 row_mask:0xf bank_mask:0xf
	v_cndmask_b32_e32 v21, 0, v21, vcc
	v_add_u32_e32 v19, v19, v21
	v_cmp_lt_u32_e32 vcc, 3, v20
	s_nop 0
	v_mov_b32_dpp v21, v19 row_shr:4 row_mask:0xf bank_mask:0xf
	;; [unrolled: 5-line block ×3, first 2 shown]
	v_cndmask_b32_e32 v20, 0, v21, vcc
	v_add_u32_e32 v19, v19, v20
	v_bfe_i32 v21, v5, 4, 1
	v_cmp_lt_u32_e32 vcc, 31, v5
	v_mov_b32_dpp v20, v19 row_bcast:15 row_mask:0xf bank_mask:0xf
	v_and_b32_e32 v20, v21, v20
	v_add_u32_e32 v19, v19, v20
	v_or_b32_e32 v21, 63, v0
	s_nop 0
	v_mov_b32_dpp v20, v19 row_bcast:31 row_mask:0xf bank_mask:0xf
	v_cndmask_b32_e32 v20, 0, v20, vcc
	v_add_u32_e32 v19, v19, v20
	v_lshrrev_b32_e32 v20, 6, v0
	v_cmp_eq_u32_e32 vcc, v21, v0
	v_lshlrev_b32_e32 v20, 2, v20
	s_and_saveexec_b64 s[0:1], vcc
	s_cbranch_execz .LBB38_8
; %bb.7:
	ds_write_b32 v20, v19 offset:4096
.LBB38_8:
	s_or_b64 exec, exec, s[0:1]
	v_cmp_gt_u32_e32 vcc, 2, v0
	s_waitcnt lgkmcnt(0)
	s_barrier
	s_and_saveexec_b64 s[0:1], vcc
	s_cbranch_execz .LBB38_10
; %bb.9:
	ds_read_b32 v21, v6 offset:4096
	v_bfe_i32 v22, v5, 0, 1
	s_waitcnt lgkmcnt(0)
	v_mov_b32_dpp v23, v21 row_shr:1 row_mask:0xf bank_mask:0xf
	v_and_b32_e32 v22, v22, v23
	v_add_u32_e32 v21, v22, v21
	ds_write_b32 v6, v21 offset:4096
.LBB38_10:
	s_or_b64 exec, exec, s[0:1]
	v_cmp_lt_u32_e32 vcc, 63, v0
	v_mov_b32_e32 v0, 0
	v_mov_b32_e32 v21, 0
	s_waitcnt lgkmcnt(0)
	s_barrier
	s_and_saveexec_b64 s[0:1], vcc
	s_cbranch_execz .LBB38_12
; %bb.11:
	ds_read_b32 v21, v20 offset:4092
.LBB38_12:
	s_or_b64 exec, exec, s[0:1]
	v_add_u32_e32 v20, -1, v5
	v_and_b32_e32 v22, 64, v5
	v_cmp_lt_i32_e32 vcc, v20, v22
	v_cndmask_b32_e32 v20, v20, v5, vcc
	s_waitcnt lgkmcnt(0)
	v_add_u32_e32 v19, v21, v19
	v_lshlrev_b32_e32 v20, 2, v20
	ds_bpermute_b32 v19, v20, v19
	ds_read_b32 v0, v0 offset:4100
	v_cmp_eq_u32_e32 vcc, 0, v5
	s_add_u32 s0, s2, s6
	s_addc_u32 s1, s3, s7
	s_waitcnt lgkmcnt(1)
	v_cndmask_b32_e32 v5, v19, v21, vcc
	s_waitcnt lgkmcnt(0)
	v_lshl_add_u32 v0, v0, 16, v5
	v_add_u32_e32 v5, v0, v10
	v_add_u32_e32 v10, v5, v11
	;; [unrolled: 1-line block ×7, first 2 shown]
	ds_write2_b32 v18, v0, v5 offset1:1
	ds_write2_b32 v18, v10, v8 offset0:2 offset1:3
	ds_write2_b32 v18, v9, v2 offset0:4 offset1:5
	ds_write2_b32 v18, v3, v4 offset0:6 offset1:7
	s_waitcnt lgkmcnt(0)
	s_barrier
	ds_read_u16 v0, v7
	ds_read_u16 v2, v13
	;; [unrolled: 1-line block ×4, first 2 shown]
	s_waitcnt lgkmcnt(3)
	v_add_u32_sdwa v0, v0, v1 dst_sel:DWORD dst_unused:UNUSED_PAD src0_sel:DWORD src1_sel:WORD_0
	s_waitcnt lgkmcnt(2)
	v_add_u32_sdwa v1, v2, v12 dst_sel:DWORD dst_unused:UNUSED_PAD src0_sel:DWORD src1_sel:WORD_0
	;; [unrolled: 2-line block ×4, first 2 shown]
	v_lshlrev_b32_e32 v4, 2, v6
	global_store_dwordx4 v4, v[0:3], s[0:1]
	s_endpgm
	.section	.rodata,"a",@progbits
	.p2align	6, 0x0
	.amdhsa_kernel _Z11rank_kernelILj128ELj4ELj4ELb0EL18RadixRankAlgorithm1EiEvPKT4_Pijj
		.amdhsa_group_segment_fixed_size 4112
		.amdhsa_private_segment_fixed_size 0
		.amdhsa_kernarg_size 24
		.amdhsa_user_sgpr_count 6
		.amdhsa_user_sgpr_private_segment_buffer 1
		.amdhsa_user_sgpr_dispatch_ptr 0
		.amdhsa_user_sgpr_queue_ptr 0
		.amdhsa_user_sgpr_kernarg_segment_ptr 1
		.amdhsa_user_sgpr_dispatch_id 0
		.amdhsa_user_sgpr_flat_scratch_init 0
		.amdhsa_user_sgpr_kernarg_preload_length 0
		.amdhsa_user_sgpr_kernarg_preload_offset 0
		.amdhsa_user_sgpr_private_segment_size 0
		.amdhsa_uses_dynamic_stack 0
		.amdhsa_system_sgpr_private_segment_wavefront_offset 0
		.amdhsa_system_sgpr_workgroup_id_x 1
		.amdhsa_system_sgpr_workgroup_id_y 0
		.amdhsa_system_sgpr_workgroup_id_z 0
		.amdhsa_system_sgpr_workgroup_info 0
		.amdhsa_system_vgpr_workitem_id 0
		.amdhsa_next_free_vgpr 24
		.amdhsa_next_free_sgpr 16
		.amdhsa_accum_offset 24
		.amdhsa_reserve_vcc 1
		.amdhsa_reserve_flat_scratch 0
		.amdhsa_float_round_mode_32 0
		.amdhsa_float_round_mode_16_64 0
		.amdhsa_float_denorm_mode_32 3
		.amdhsa_float_denorm_mode_16_64 3
		.amdhsa_dx10_clamp 1
		.amdhsa_ieee_mode 1
		.amdhsa_fp16_overflow 0
		.amdhsa_tg_split 0
		.amdhsa_exception_fp_ieee_invalid_op 0
		.amdhsa_exception_fp_denorm_src 0
		.amdhsa_exception_fp_ieee_div_zero 0
		.amdhsa_exception_fp_ieee_overflow 0
		.amdhsa_exception_fp_ieee_underflow 0
		.amdhsa_exception_fp_ieee_inexact 0
		.amdhsa_exception_int_div_zero 0
	.end_amdhsa_kernel
	.section	.text._Z11rank_kernelILj128ELj4ELj4ELb0EL18RadixRankAlgorithm1EiEvPKT4_Pijj,"axG",@progbits,_Z11rank_kernelILj128ELj4ELj4ELb0EL18RadixRankAlgorithm1EiEvPKT4_Pijj,comdat
.Lfunc_end38:
	.size	_Z11rank_kernelILj128ELj4ELj4ELb0EL18RadixRankAlgorithm1EiEvPKT4_Pijj, .Lfunc_end38-_Z11rank_kernelILj128ELj4ELj4ELb0EL18RadixRankAlgorithm1EiEvPKT4_Pijj
                                        ; -- End function
	.section	.AMDGPU.csdata,"",@progbits
; Kernel info:
; codeLenInByte = 1176
; NumSgprs: 20
; NumVgprs: 24
; NumAgprs: 0
; TotalNumVgprs: 24
; ScratchSize: 0
; MemoryBound: 0
; FloatMode: 240
; IeeeMode: 1
; LDSByteSize: 4112 bytes/workgroup (compile time only)
; SGPRBlocks: 2
; VGPRBlocks: 2
; NumSGPRsForWavesPerEU: 20
; NumVGPRsForWavesPerEU: 24
; AccumOffset: 24
; Occupancy: 8
; WaveLimiterHint : 0
; COMPUTE_PGM_RSRC2:SCRATCH_EN: 0
; COMPUTE_PGM_RSRC2:USER_SGPR: 6
; COMPUTE_PGM_RSRC2:TRAP_HANDLER: 0
; COMPUTE_PGM_RSRC2:TGID_X_EN: 1
; COMPUTE_PGM_RSRC2:TGID_Y_EN: 0
; COMPUTE_PGM_RSRC2:TGID_Z_EN: 0
; COMPUTE_PGM_RSRC2:TIDIG_COMP_CNT: 0
; COMPUTE_PGM_RSRC3_GFX90A:ACCUM_OFFSET: 5
; COMPUTE_PGM_RSRC3_GFX90A:TG_SPLIT: 0
	.section	.text._Z11rank_kernelILj64ELj2ELj4ELb1EL18RadixRankAlgorithm1EyEvPKT4_Pijj,"axG",@progbits,_Z11rank_kernelILj64ELj2ELj4ELb1EL18RadixRankAlgorithm1EyEvPKT4_Pijj,comdat
	.protected	_Z11rank_kernelILj64ELj2ELj4ELb1EL18RadixRankAlgorithm1EyEvPKT4_Pijj ; -- Begin function _Z11rank_kernelILj64ELj2ELj4ELb1EL18RadixRankAlgorithm1EyEvPKT4_Pijj
	.globl	_Z11rank_kernelILj64ELj2ELj4ELb1EL18RadixRankAlgorithm1EyEvPKT4_Pijj
	.p2align	8
	.type	_Z11rank_kernelILj64ELj2ELj4ELb1EL18RadixRankAlgorithm1EyEvPKT4_Pijj,@function
_Z11rank_kernelILj64ELj2ELj4ELb1EL18RadixRankAlgorithm1EyEvPKT4_Pijj: ; @_Z11rank_kernelILj64ELj2ELj4ELb1EL18RadixRankAlgorithm1EyEvPKT4_Pijj
; %bb.0:
	s_load_dwordx4 s[0:3], s[4:5], 0x0
	s_lshl_b32 s6, s6, 7
	s_mov_b32 s7, 0
	s_lshl_b64 s[8:9], s[6:7], 3
	v_lshlrev_b32_e32 v1, 4, v0
	s_waitcnt lgkmcnt(0)
	s_add_u32 s0, s0, s8
	s_addc_u32 s1, s1, s9
	global_load_dwordx4 v[2:5], v1, s[0:1]
	s_movk_i32 s0, 0x200
	v_lshlrev_b32_e32 v10, 1, v0
	v_cmp_gt_u32_e32 vcc, s0, v0
	s_and_saveexec_b64 s[0:1], vcc
	s_cbranch_execz .LBB39_7
; %bb.1:
	v_or_b32_e32 v1, 64, v0
	s_mov_b64 s[8:9], 0
	v_mov_b32_e32 v8, 0
	s_mov_b32 s14, s7
	v_pk_mov_b32 v[6:7], v[0:1], v[0:1] op_sel:[0,1]
	s_branch .LBB39_3
.LBB39_2:                               ;   in Loop: Header=BB39_3 Depth=1
	s_or_b64 exec, exec, s[12:13]
	s_add_i32 s14, s14, 2
	v_cmp_eq_u32_e64 s[10:11], 8, s14
	v_add_u32_e32 v7, 0x80, v7
	s_or_b64 s[8:9], s[10:11], s[8:9]
	v_add_u32_e32 v6, 0x80, v6
	s_andn2_b64 exec, exec, s[8:9]
	s_cbranch_execz .LBB39_7
.LBB39_3:                               ; =>This Inner Loop Header: Depth=1
	s_or_b32 s10, s14, 1
	v_cmp_le_u32_e64 s[10:11], s10, 7
	v_cmp_le_u32_e64 s[16:17], s14, 7
	s_and_saveexec_b64 s[12:13], s[16:17]
	s_cbranch_execz .LBB39_5
; %bb.4:                                ;   in Loop: Header=BB39_3 Depth=1
	v_lshlrev_b32_e32 v1, 2, v6
	ds_write_b32 v1, v8
.LBB39_5:                               ;   in Loop: Header=BB39_3 Depth=1
	s_or_b64 exec, exec, s[12:13]
	s_and_saveexec_b64 s[12:13], s[10:11]
	s_cbranch_execz .LBB39_2
; %bb.6:                                ;   in Loop: Header=BB39_3 Depth=1
	v_lshlrev_b32_e32 v1, 2, v7
	ds_write_b32 v1, v8
	s_branch .LBB39_2
.LBB39_7:
	s_or_b64 exec, exec, s[0:1]
	s_load_dwordx2 s[0:1], s[4:5], 0x10
	s_movk_i32 s8, 0x1c0
	v_lshlrev_b32_e32 v14, 5, v0
	s_waitcnt lgkmcnt(0)
	s_and_b32 s1, s1, 63
	s_cmp_eq_u32 s1, 0
	s_cselect_b64 s[4:5], -1, 0
	s_and_b32 s0, s0, 63
	s_add_i32 s0, s0, s1
	s_sub_i32 s0, 64, s0
	s_sub_i32 s9, 64, s1
	s_waitcnt vmcnt(0)
	v_lshlrev_b64 v[2:3], s0, v[2:3]
	v_lshrrev_b64 v[2:3], s9, v[2:3]
	v_xor_b32_e32 v1, 15, v2
	v_cndmask_b32_e64 v1, v1, 15, s[4:5]
	v_lshrrev_b32_e32 v2, 3, v1
	v_lshlrev_b32_e32 v1, 6, v1
	v_and_or_b32 v1, v1, s8, v0
	v_lshlrev_b32_e32 v1, 1, v1
	v_add_lshl_u32 v11, v1, v2, 1
	ds_read_u16 v1, v11
	v_lshlrev_b64 v[2:3], s0, v[4:5]
	v_lshrrev_b64 v[2:3], s9, v[2:3]
	v_xor_b32_e32 v2, 15, v2
	v_cndmask_b32_e64 v2, v2, 15, s[4:5]
	s_waitcnt lgkmcnt(0)
	v_add_u16_e32 v3, 1, v1
	ds_write_b16 v11, v3
	v_lshrrev_b32_e32 v3, 3, v2
	v_lshlrev_b32_e32 v2, 6, v2
	v_and_or_b32 v2, v2, s8, v0
	v_lshlrev_b32_e32 v2, 1, v2
	v_add_lshl_u32 v13, v2, v3, 1
	ds_read_u16 v12, v13
	s_waitcnt lgkmcnt(0)
	v_add_u16_e32 v2, 1, v12
	ds_write_b16 v13, v2
	s_waitcnt lgkmcnt(0)
	; wave barrier
	s_waitcnt lgkmcnt(0)
	ds_read2_b32 v[8:9], v14 offset1:1
	ds_read2_b32 v[6:7], v14 offset0:2 offset1:3
	ds_read2_b32 v[2:3], v14 offset0:4 offset1:5
	;; [unrolled: 1-line block ×3, first 2 shown]
	s_waitcnt lgkmcnt(3)
	v_add_u32_e32 v15, v9, v8
	s_waitcnt lgkmcnt(2)
	v_add3_u32 v15, v15, v6, v7
	s_waitcnt lgkmcnt(1)
	v_add3_u32 v15, v15, v2, v3
	;; [unrolled: 2-line block ×3, first 2 shown]
	v_mbcnt_lo_u32_b32 v5, -1, 0
	v_mbcnt_hi_u32_b32 v5, -1, v5
	v_and_b32_e32 v16, 15, v5
	v_mov_b32_dpp v17, v15 row_shr:1 row_mask:0xf bank_mask:0xf
	v_cmp_ne_u32_e32 vcc, 0, v16
	v_cndmask_b32_e32 v17, 0, v17, vcc
	v_add_u32_e32 v15, v17, v15
	v_cmp_lt_u32_e32 vcc, 1, v16
	s_nop 0
	v_mov_b32_dpp v17, v15 row_shr:2 row_mask:0xf bank_mask:0xf
	v_cndmask_b32_e32 v17, 0, v17, vcc
	v_add_u32_e32 v15, v15, v17
	v_cmp_lt_u32_e32 vcc, 3, v16
	s_nop 0
	v_mov_b32_dpp v17, v15 row_shr:4 row_mask:0xf bank_mask:0xf
	;; [unrolled: 5-line block ×3, first 2 shown]
	v_cndmask_b32_e32 v16, 0, v17, vcc
	v_add_u32_e32 v15, v15, v16
	v_bfe_i32 v17, v5, 4, 1
	v_cmp_lt_u32_e32 vcc, 31, v5
	v_mov_b32_dpp v16, v15 row_bcast:15 row_mask:0xf bank_mask:0xf
	v_and_b32_e32 v16, v17, v16
	v_add_u32_e32 v15, v15, v16
	s_nop 1
	v_mov_b32_dpp v16, v15 row_bcast:31 row_mask:0xf bank_mask:0xf
	v_cndmask_b32_e32 v16, 0, v16, vcc
	v_add_u32_e32 v15, v15, v16
	v_cmp_eq_u32_e32 vcc, 63, v0
	s_and_saveexec_b64 s[0:1], vcc
	s_cbranch_execz .LBB39_9
; %bb.8:
	v_mov_b32_e32 v0, 0
	ds_write_b32 v0, v15 offset:2048
.LBB39_9:
	s_or_b64 exec, exec, s[0:1]
	v_add_u32_e32 v0, -1, v5
	v_and_b32_e32 v16, 64, v5
	v_cmp_lt_i32_e32 vcc, v0, v16
	v_cndmask_b32_e32 v0, v0, v5, vcc
	v_lshlrev_b32_e32 v0, 2, v0
	ds_bpermute_b32 v0, v0, v15
	v_mov_b32_e32 v15, 0
	s_waitcnt lgkmcnt(0)
	; wave barrier
	s_waitcnt lgkmcnt(0)
	ds_read_b32 v15, v15 offset:2048
	v_cmp_ne_u32_e32 vcc, 0, v5
	v_cndmask_b32_e32 v0, 0, v0, vcc
	s_lshl_b64 s[0:1], s[6:7], 2
	s_add_u32 s0, s2, s0
	s_waitcnt lgkmcnt(0)
	v_lshl_add_u32 v0, v15, 16, v0
	v_add_u32_e32 v5, v0, v8
	v_add_u32_e32 v8, v5, v9
	;; [unrolled: 1-line block ×7, first 2 shown]
	ds_write2_b32 v14, v0, v5 offset1:1
	ds_write2_b32 v14, v8, v6 offset0:2 offset1:3
	ds_write2_b32 v14, v7, v2 offset0:4 offset1:5
	ds_write2_b32 v14, v3, v4 offset0:6 offset1:7
	s_waitcnt lgkmcnt(0)
	; wave barrier
	s_waitcnt lgkmcnt(0)
	ds_read_u16 v0, v11
	ds_read_u16 v2, v13
	s_addc_u32 s1, s3, s1
	s_waitcnt lgkmcnt(1)
	v_add_u32_sdwa v0, v0, v1 dst_sel:DWORD dst_unused:UNUSED_PAD src0_sel:DWORD src1_sel:WORD_0
	s_waitcnt lgkmcnt(0)
	v_add_u32_sdwa v1, v2, v12 dst_sel:DWORD dst_unused:UNUSED_PAD src0_sel:DWORD src1_sel:WORD_0
	v_lshlrev_b32_e32 v2, 2, v10
	global_store_dwordx2 v2, v[0:1], s[0:1]
	s_endpgm
	.section	.rodata,"a",@progbits
	.p2align	6, 0x0
	.amdhsa_kernel _Z11rank_kernelILj64ELj2ELj4ELb1EL18RadixRankAlgorithm1EyEvPKT4_Pijj
		.amdhsa_group_segment_fixed_size 2064
		.amdhsa_private_segment_fixed_size 0
		.amdhsa_kernarg_size 24
		.amdhsa_user_sgpr_count 6
		.amdhsa_user_sgpr_private_segment_buffer 1
		.amdhsa_user_sgpr_dispatch_ptr 0
		.amdhsa_user_sgpr_queue_ptr 0
		.amdhsa_user_sgpr_kernarg_segment_ptr 1
		.amdhsa_user_sgpr_dispatch_id 0
		.amdhsa_user_sgpr_flat_scratch_init 0
		.amdhsa_user_sgpr_kernarg_preload_length 0
		.amdhsa_user_sgpr_kernarg_preload_offset 0
		.amdhsa_user_sgpr_private_segment_size 0
		.amdhsa_uses_dynamic_stack 0
		.amdhsa_system_sgpr_private_segment_wavefront_offset 0
		.amdhsa_system_sgpr_workgroup_id_x 1
		.amdhsa_system_sgpr_workgroup_id_y 0
		.amdhsa_system_sgpr_workgroup_id_z 0
		.amdhsa_system_sgpr_workgroup_info 0
		.amdhsa_system_vgpr_workitem_id 0
		.amdhsa_next_free_vgpr 18
		.amdhsa_next_free_sgpr 18
		.amdhsa_accum_offset 20
		.amdhsa_reserve_vcc 1
		.amdhsa_reserve_flat_scratch 0
		.amdhsa_float_round_mode_32 0
		.amdhsa_float_round_mode_16_64 0
		.amdhsa_float_denorm_mode_32 3
		.amdhsa_float_denorm_mode_16_64 3
		.amdhsa_dx10_clamp 1
		.amdhsa_ieee_mode 1
		.amdhsa_fp16_overflow 0
		.amdhsa_tg_split 0
		.amdhsa_exception_fp_ieee_invalid_op 0
		.amdhsa_exception_fp_denorm_src 0
		.amdhsa_exception_fp_ieee_div_zero 0
		.amdhsa_exception_fp_ieee_overflow 0
		.amdhsa_exception_fp_ieee_underflow 0
		.amdhsa_exception_fp_ieee_inexact 0
		.amdhsa_exception_int_div_zero 0
	.end_amdhsa_kernel
	.section	.text._Z11rank_kernelILj64ELj2ELj4ELb1EL18RadixRankAlgorithm1EyEvPKT4_Pijj,"axG",@progbits,_Z11rank_kernelILj64ELj2ELj4ELb1EL18RadixRankAlgorithm1EyEvPKT4_Pijj,comdat
.Lfunc_end39:
	.size	_Z11rank_kernelILj64ELj2ELj4ELb1EL18RadixRankAlgorithm1EyEvPKT4_Pijj, .Lfunc_end39-_Z11rank_kernelILj64ELj2ELj4ELb1EL18RadixRankAlgorithm1EyEvPKT4_Pijj
                                        ; -- End function
	.section	.AMDGPU.csdata,"",@progbits
; Kernel info:
; codeLenInByte = 896
; NumSgprs: 22
; NumVgprs: 18
; NumAgprs: 0
; TotalNumVgprs: 18
; ScratchSize: 0
; MemoryBound: 0
; FloatMode: 240
; IeeeMode: 1
; LDSByteSize: 2064 bytes/workgroup (compile time only)
; SGPRBlocks: 2
; VGPRBlocks: 2
; NumSGPRsForWavesPerEU: 22
; NumVGPRsForWavesPerEU: 18
; AccumOffset: 20
; Occupancy: 8
; WaveLimiterHint : 0
; COMPUTE_PGM_RSRC2:SCRATCH_EN: 0
; COMPUTE_PGM_RSRC2:USER_SGPR: 6
; COMPUTE_PGM_RSRC2:TRAP_HANDLER: 0
; COMPUTE_PGM_RSRC2:TGID_X_EN: 1
; COMPUTE_PGM_RSRC2:TGID_Y_EN: 0
; COMPUTE_PGM_RSRC2:TGID_Z_EN: 0
; COMPUTE_PGM_RSRC2:TIDIG_COMP_CNT: 0
; COMPUTE_PGM_RSRC3_GFX90A:ACCUM_OFFSET: 4
; COMPUTE_PGM_RSRC3_GFX90A:TG_SPLIT: 0
	.section	.text._Z11rank_kernelILj255ELj1ELj4ELb0EL18RadixRankAlgorithm1EhEvPKT4_Pijj,"axG",@progbits,_Z11rank_kernelILj255ELj1ELj4ELb0EL18RadixRankAlgorithm1EhEvPKT4_Pijj,comdat
	.protected	_Z11rank_kernelILj255ELj1ELj4ELb0EL18RadixRankAlgorithm1EhEvPKT4_Pijj ; -- Begin function _Z11rank_kernelILj255ELj1ELj4ELb0EL18RadixRankAlgorithm1EhEvPKT4_Pijj
	.globl	_Z11rank_kernelILj255ELj1ELj4ELb0EL18RadixRankAlgorithm1EhEvPKT4_Pijj
	.p2align	8
	.type	_Z11rank_kernelILj255ELj1ELj4ELb0EL18RadixRankAlgorithm1EhEvPKT4_Pijj,@function
_Z11rank_kernelILj255ELj1ELj4ELb0EL18RadixRankAlgorithm1EhEvPKT4_Pijj: ; @_Z11rank_kernelILj255ELj1ELj4ELb0EL18RadixRankAlgorithm1EhEvPKT4_Pijj
; %bb.0:
	s_load_dwordx4 s[0:3], s[4:5], 0x0
	s_mulk_i32 s6, 0xff
	v_sub_u32_e32 v1, 0x6f8, v0
	s_mov_b32 s7, 0
	v_mov_b32_e32 v7, 0
	s_waitcnt lgkmcnt(0)
	s_add_u32 s0, s0, s6
	s_addc_u32 s1, s1, 0
	global_load_ubyte v6, v0, s[0:1]
	s_mov_b32 s0, 0x1010102
	v_mul_hi_u32 v1, v1, s0
	v_add_u32_e32 v2, 3, v1
	v_and_b32_e32 v8, 30, v2
	v_add_u32_e32 v2, 1, v1
	v_add_u32_e32 v1, 0xff, v0
	v_mov_b32_e32 v3, v2
	s_mov_b64 s[8:9], 0
	s_mov_b32 s12, s7
	v_pk_mov_b32 v[4:5], v[0:1], v[0:1] op_sel:[0,1]
	s_branch .LBB40_2
.LBB40_1:                               ;   in Loop: Header=BB40_2 Depth=1
	s_or_b64 exec, exec, s[0:1]
	s_add_i32 s12, s12, 2
	v_cmp_eq_u32_e32 vcc, s12, v8
	v_add_u32_e32 v5, 0x1fe, v5
	s_or_b64 s[8:9], vcc, s[8:9]
	v_add_u32_e32 v4, 0x1fe, v4
	s_andn2_b64 exec, exec, s[8:9]
	s_cbranch_execz .LBB40_6
.LBB40_2:                               ; =>This Inner Loop Header: Depth=1
	s_or_b32 s0, s12, 1
	v_cmp_le_u32_e32 vcc, s0, v3
	v_cmp_le_u32_e64 s[0:1], s12, v2
	s_and_saveexec_b64 s[10:11], s[0:1]
	s_cbranch_execz .LBB40_4
; %bb.3:                                ;   in Loop: Header=BB40_2 Depth=1
	v_lshlrev_b32_e32 v1, 2, v4
	ds_write_b32 v1, v7
.LBB40_4:                               ;   in Loop: Header=BB40_2 Depth=1
	s_or_b64 exec, exec, s[10:11]
	s_and_saveexec_b64 s[0:1], vcc
	s_cbranch_execz .LBB40_1
; %bb.5:                                ;   in Loop: Header=BB40_2 Depth=1
	v_lshlrev_b32_e32 v1, 2, v5
	ds_write_b32 v1, v7
	s_branch .LBB40_1
.LBB40_6:
	s_or_b64 exec, exec, s[8:9]
	s_load_dwordx2 s[0:1], s[4:5], 0x10
	v_lshlrev_b32_e32 v11, 5, v0
	s_waitcnt lgkmcnt(0)
	s_and_b32 s1, s1, 31
	s_and_b32 s0, s0, 31
	s_add_i32 s0, s0, s1
	s_sub_i32 s4, 32, s1
	s_sub_i32 s0, 32, s0
	s_waitcnt vmcnt(0)
	v_lshlrev_b32_sdwa v1, s0, v6 dst_sel:DWORD dst_unused:UNUSED_PAD src0_sel:DWORD src1_sel:BYTE_0
	s_cmp_lg_u32 s1, 0
	v_bfe_u32 v1, v1, s4, 8
	s_cselect_b64 vcc, -1, 0
	v_cndmask_b32_e32 v1, 0, v1, vcc
	v_and_b32_e32 v2, 7, v1
	v_mul_u32_u24_e32 v2, 0xff, v2
	v_lshrrev_b32_e32 v1, 3, v1
	v_add_lshl_u32 v2, v2, v0, 1
	v_add_lshl_u32 v1, v2, v1, 1
	ds_read_u16 v10, v1
	s_waitcnt lgkmcnt(0)
	v_add_u16_e32 v2, 1, v10
	ds_write_b16 v1, v2
	s_waitcnt lgkmcnt(0)
	s_barrier
	ds_read2_b32 v[8:9], v11 offset1:1
	ds_read2_b32 v[6:7], v11 offset0:2 offset1:3
	ds_read2_b32 v[2:3], v11 offset0:4 offset1:5
	;; [unrolled: 1-line block ×3, first 2 shown]
	s_waitcnt lgkmcnt(3)
	v_add_u32_e32 v12, v9, v8
	s_waitcnt lgkmcnt(2)
	v_add3_u32 v12, v12, v6, v7
	s_waitcnt lgkmcnt(1)
	v_add3_u32 v12, v12, v2, v3
	;; [unrolled: 2-line block ×3, first 2 shown]
	v_mbcnt_lo_u32_b32 v5, -1, 0
	v_mbcnt_hi_u32_b32 v5, -1, v5
	v_and_b32_e32 v13, 15, v5
	v_mov_b32_dpp v14, v12 row_shr:1 row_mask:0xf bank_mask:0xf
	v_cmp_ne_u32_e32 vcc, 0, v13
	v_cndmask_b32_e32 v14, 0, v14, vcc
	v_add_u32_e32 v12, v14, v12
	v_cmp_lt_u32_e32 vcc, 1, v13
	s_nop 0
	v_mov_b32_dpp v14, v12 row_shr:2 row_mask:0xf bank_mask:0xf
	v_cndmask_b32_e32 v14, 0, v14, vcc
	v_add_u32_e32 v12, v12, v14
	v_cmp_lt_u32_e32 vcc, 3, v13
	s_nop 0
	v_mov_b32_dpp v14, v12 row_shr:4 row_mask:0xf bank_mask:0xf
	;; [unrolled: 5-line block ×3, first 2 shown]
	v_cndmask_b32_e32 v13, 0, v14, vcc
	v_add_u32_e32 v12, v12, v13
	v_bfe_i32 v14, v5, 4, 1
	v_cmp_lt_u32_e32 vcc, 31, v5
	v_mov_b32_dpp v13, v12 row_bcast:15 row_mask:0xf bank_mask:0xf
	v_and_b32_e32 v13, v14, v13
	v_add_u32_e32 v12, v12, v13
	v_and_b32_e32 v14, 0xc0, v0
	v_min_u32_e32 v14, 0xbf, v14
	v_mov_b32_dpp v13, v12 row_bcast:31 row_mask:0xf bank_mask:0xf
	v_cndmask_b32_e32 v13, 0, v13, vcc
	v_add_u32_e32 v13, v12, v13
	v_lshrrev_b32_e32 v12, 6, v0
	v_add_u32_e32 v14, 63, v14
	v_cmp_eq_u32_e32 vcc, v14, v0
	v_lshlrev_b32_e32 v14, 2, v12
	s_and_saveexec_b64 s[0:1], vcc
	s_cbranch_execz .LBB40_8
; %bb.7:
	ds_write_b32 v14, v13 offset:8160
.LBB40_8:
	s_or_b64 exec, exec, s[0:1]
	v_cmp_gt_u32_e32 vcc, 4, v0
	v_lshlrev_b32_e32 v12, 2, v0
	s_waitcnt lgkmcnt(0)
	s_barrier
	s_and_saveexec_b64 s[0:1], vcc
	s_cbranch_execz .LBB40_10
; %bb.9:
	ds_read_b32 v15, v12 offset:8160
	v_and_b32_e32 v16, 3, v5
	v_cmp_ne_u32_e32 vcc, 0, v16
	s_waitcnt lgkmcnt(0)
	v_mov_b32_dpp v17, v15 row_shr:1 row_mask:0xf bank_mask:0xf
	v_cndmask_b32_e32 v17, 0, v17, vcc
	v_add_u32_e32 v15, v17, v15
	v_cmp_lt_u32_e32 vcc, 1, v16
	s_nop 0
	v_mov_b32_dpp v17, v15 row_shr:2 row_mask:0xf bank_mask:0xf
	v_cndmask_b32_e32 v16, 0, v17, vcc
	v_add_u32_e32 v15, v15, v16
	ds_write_b32 v12, v15 offset:8160
.LBB40_10:
	s_or_b64 exec, exec, s[0:1]
	v_cmp_lt_u32_e32 vcc, 63, v0
	v_mov_b32_e32 v0, 0
	v_mov_b32_e32 v15, 0
	s_waitcnt lgkmcnt(0)
	s_barrier
	s_and_saveexec_b64 s[0:1], vcc
	s_cbranch_execz .LBB40_12
; %bb.11:
	ds_read_b32 v15, v14 offset:8156
.LBB40_12:
	s_or_b64 exec, exec, s[0:1]
	v_add_u32_e32 v14, -1, v5
	v_and_b32_e32 v16, 64, v5
	v_cmp_lt_i32_e32 vcc, v14, v16
	v_cndmask_b32_e32 v14, v14, v5, vcc
	s_waitcnt lgkmcnt(0)
	v_add_u32_e32 v13, v15, v13
	v_lshlrev_b32_e32 v14, 2, v14
	ds_bpermute_b32 v13, v14, v13
	ds_read_b32 v0, v0 offset:8172
	v_cmp_eq_u32_e32 vcc, 0, v5
	s_lshl_b64 s[0:1], s[6:7], 2
	s_add_u32 s0, s2, s0
	s_waitcnt lgkmcnt(1)
	v_cndmask_b32_e32 v5, v13, v15, vcc
	s_waitcnt lgkmcnt(0)
	v_lshl_add_u32 v0, v0, 16, v5
	v_add_u32_e32 v5, v0, v8
	v_add_u32_e32 v8, v5, v9
	;; [unrolled: 1-line block ×7, first 2 shown]
	ds_write2_b32 v11, v0, v5 offset1:1
	ds_write2_b32 v11, v8, v6 offset0:2 offset1:3
	ds_write2_b32 v11, v7, v2 offset0:4 offset1:5
	;; [unrolled: 1-line block ×3, first 2 shown]
	s_waitcnt lgkmcnt(0)
	s_barrier
	ds_read_u16 v0, v1
	s_addc_u32 s1, s3, s1
	s_waitcnt lgkmcnt(0)
	v_add_u32_sdwa v0, v0, v10 dst_sel:DWORD dst_unused:UNUSED_PAD src0_sel:DWORD src1_sel:WORD_0
	global_store_dword v12, v0, s[0:1]
	s_endpgm
	.section	.rodata,"a",@progbits
	.p2align	6, 0x0
	.amdhsa_kernel _Z11rank_kernelILj255ELj1ELj4ELb0EL18RadixRankAlgorithm1EhEvPKT4_Pijj
		.amdhsa_group_segment_fixed_size 8176
		.amdhsa_private_segment_fixed_size 0
		.amdhsa_kernarg_size 24
		.amdhsa_user_sgpr_count 6
		.amdhsa_user_sgpr_private_segment_buffer 1
		.amdhsa_user_sgpr_dispatch_ptr 0
		.amdhsa_user_sgpr_queue_ptr 0
		.amdhsa_user_sgpr_kernarg_segment_ptr 1
		.amdhsa_user_sgpr_dispatch_id 0
		.amdhsa_user_sgpr_flat_scratch_init 0
		.amdhsa_user_sgpr_kernarg_preload_length 0
		.amdhsa_user_sgpr_kernarg_preload_offset 0
		.amdhsa_user_sgpr_private_segment_size 0
		.amdhsa_uses_dynamic_stack 0
		.amdhsa_system_sgpr_private_segment_wavefront_offset 0
		.amdhsa_system_sgpr_workgroup_id_x 1
		.amdhsa_system_sgpr_workgroup_id_y 0
		.amdhsa_system_sgpr_workgroup_id_z 0
		.amdhsa_system_sgpr_workgroup_info 0
		.amdhsa_system_vgpr_workitem_id 0
		.amdhsa_next_free_vgpr 18
		.amdhsa_next_free_sgpr 13
		.amdhsa_accum_offset 20
		.amdhsa_reserve_vcc 1
		.amdhsa_reserve_flat_scratch 0
		.amdhsa_float_round_mode_32 0
		.amdhsa_float_round_mode_16_64 0
		.amdhsa_float_denorm_mode_32 3
		.amdhsa_float_denorm_mode_16_64 3
		.amdhsa_dx10_clamp 1
		.amdhsa_ieee_mode 1
		.amdhsa_fp16_overflow 0
		.amdhsa_tg_split 0
		.amdhsa_exception_fp_ieee_invalid_op 0
		.amdhsa_exception_fp_denorm_src 0
		.amdhsa_exception_fp_ieee_div_zero 0
		.amdhsa_exception_fp_ieee_overflow 0
		.amdhsa_exception_fp_ieee_underflow 0
		.amdhsa_exception_fp_ieee_inexact 0
		.amdhsa_exception_int_div_zero 0
	.end_amdhsa_kernel
	.section	.text._Z11rank_kernelILj255ELj1ELj4ELb0EL18RadixRankAlgorithm1EhEvPKT4_Pijj,"axG",@progbits,_Z11rank_kernelILj255ELj1ELj4ELb0EL18RadixRankAlgorithm1EhEvPKT4_Pijj,comdat
.Lfunc_end40:
	.size	_Z11rank_kernelILj255ELj1ELj4ELb0EL18RadixRankAlgorithm1EhEvPKT4_Pijj, .Lfunc_end40-_Z11rank_kernelILj255ELj1ELj4ELb0EL18RadixRankAlgorithm1EhEvPKT4_Pijj
                                        ; -- End function
	.section	.AMDGPU.csdata,"",@progbits
; Kernel info:
; codeLenInByte = 948
; NumSgprs: 17
; NumVgprs: 18
; NumAgprs: 0
; TotalNumVgprs: 18
; ScratchSize: 0
; MemoryBound: 0
; FloatMode: 240
; IeeeMode: 1
; LDSByteSize: 8176 bytes/workgroup (compile time only)
; SGPRBlocks: 2
; VGPRBlocks: 2
; NumSGPRsForWavesPerEU: 17
; NumVGPRsForWavesPerEU: 18
; AccumOffset: 20
; Occupancy: 8
; WaveLimiterHint : 0
; COMPUTE_PGM_RSRC2:SCRATCH_EN: 0
; COMPUTE_PGM_RSRC2:USER_SGPR: 6
; COMPUTE_PGM_RSRC2:TRAP_HANDLER: 0
; COMPUTE_PGM_RSRC2:TGID_X_EN: 1
; COMPUTE_PGM_RSRC2:TGID_Y_EN: 0
; COMPUTE_PGM_RSRC2:TGID_Z_EN: 0
; COMPUTE_PGM_RSRC2:TIDIG_COMP_CNT: 0
; COMPUTE_PGM_RSRC3_GFX90A:ACCUM_OFFSET: 4
; COMPUTE_PGM_RSRC3_GFX90A:TG_SPLIT: 0
	.section	.text._Z11rank_kernelILj162ELj1ELj4ELb0EL18RadixRankAlgorithm1EjEvPKT4_Pijj,"axG",@progbits,_Z11rank_kernelILj162ELj1ELj4ELb0EL18RadixRankAlgorithm1EjEvPKT4_Pijj,comdat
	.protected	_Z11rank_kernelILj162ELj1ELj4ELb0EL18RadixRankAlgorithm1EjEvPKT4_Pijj ; -- Begin function _Z11rank_kernelILj162ELj1ELj4ELb0EL18RadixRankAlgorithm1EjEvPKT4_Pijj
	.globl	_Z11rank_kernelILj162ELj1ELj4ELb0EL18RadixRankAlgorithm1EjEvPKT4_Pijj
	.p2align	8
	.type	_Z11rank_kernelILj162ELj1ELj4ELb0EL18RadixRankAlgorithm1EjEvPKT4_Pijj,@function
_Z11rank_kernelILj162ELj1ELj4ELb0EL18RadixRankAlgorithm1EjEvPKT4_Pijj: ; @_Z11rank_kernelILj162ELj1ELj4ELb0EL18RadixRankAlgorithm1EjEvPKT4_Pijj
; %bb.0:
	s_load_dwordx4 s[0:3], s[4:5], 0x0
	s_mul_i32 s8, s6, 0xa2
	s_mov_b32 s9, 0
	s_lshl_b64 s[6:7], s[8:9], 2
	v_lshlrev_b32_e32 v1, 2, v0
	s_waitcnt lgkmcnt(0)
	s_add_u32 s0, s0, s6
	s_addc_u32 s1, s1, s7
	global_load_dword v6, v1, s[0:1]
	v_sub_u32_e32 v1, 0x46d, v0
	s_mov_b32 s0, 0x1948b10
	v_mul_hi_u32 v1, v1, s0
	v_add_u32_e32 v2, 3, v1
	v_and_b32_e32 v8, 30, v2
	v_add_u32_e32 v2, 1, v1
	v_add_u32_e32 v1, 0xa2, v0
	v_mov_b32_e32 v7, 0
	v_mov_b32_e32 v3, v2
	s_mov_b64 s[10:11], 0
	v_pk_mov_b32 v[4:5], v[0:1], v[0:1] op_sel:[0,1]
	s_branch .LBB41_2
.LBB41_1:                               ;   in Loop: Header=BB41_2 Depth=1
	s_or_b64 exec, exec, s[0:1]
	s_add_i32 s9, s9, 2
	v_cmp_eq_u32_e32 vcc, s9, v8
	v_add_u32_e32 v5, 0x144, v5
	s_or_b64 s[10:11], vcc, s[10:11]
	v_add_u32_e32 v4, 0x144, v4
	s_andn2_b64 exec, exec, s[10:11]
	s_cbranch_execz .LBB41_6
.LBB41_2:                               ; =>This Inner Loop Header: Depth=1
	s_or_b32 s0, s9, 1
	v_cmp_le_u32_e32 vcc, s0, v3
	v_cmp_le_u32_e64 s[0:1], s9, v2
	s_and_saveexec_b64 s[12:13], s[0:1]
	s_cbranch_execz .LBB41_4
; %bb.3:                                ;   in Loop: Header=BB41_2 Depth=1
	v_lshlrev_b32_e32 v1, 2, v4
	ds_write_b32 v1, v7
.LBB41_4:                               ;   in Loop: Header=BB41_2 Depth=1
	s_or_b64 exec, exec, s[12:13]
	s_and_saveexec_b64 s[0:1], vcc
	s_cbranch_execz .LBB41_1
; %bb.5:                                ;   in Loop: Header=BB41_2 Depth=1
	v_lshlrev_b32_e32 v1, 2, v5
	ds_write_b32 v1, v7
	s_branch .LBB41_1
.LBB41_6:
	s_or_b64 exec, exec, s[10:11]
	s_load_dwordx2 s[0:1], s[4:5], 0x10
	v_lshlrev_b32_e32 v11, 5, v0
	s_waitcnt lgkmcnt(0)
	s_and_b32 s1, s1, 31
	s_and_b32 s0, s0, 31
	s_add_i32 s0, s0, s1
	s_sub_i32 s4, 32, s1
	s_sub_i32 s0, 32, s0
	s_waitcnt vmcnt(0)
	v_lshlrev_b32_e32 v1, s0, v6
	s_cmp_lg_u32 s1, 0
	v_lshrrev_b32_e32 v1, s4, v1
	s_cselect_b64 vcc, -1, 0
	v_cndmask_b32_e32 v1, 0, v1, vcc
	v_and_b32_e32 v2, 7, v1
	v_mul_u32_u24_e32 v2, 0xa2, v2
	v_lshrrev_b32_e32 v1, 3, v1
	v_add_lshl_u32 v2, v2, v0, 1
	v_add_lshl_u32 v1, v2, v1, 1
	ds_read_u16 v10, v1
	s_waitcnt lgkmcnt(0)
	v_add_u16_e32 v2, 1, v10
	ds_write_b16 v1, v2
	s_waitcnt lgkmcnt(0)
	s_barrier
	ds_read2_b32 v[8:9], v11 offset1:1
	ds_read2_b32 v[6:7], v11 offset0:2 offset1:3
	ds_read2_b32 v[2:3], v11 offset0:4 offset1:5
	;; [unrolled: 1-line block ×3, first 2 shown]
	s_waitcnt lgkmcnt(3)
	v_add_u32_e32 v12, v9, v8
	s_waitcnt lgkmcnt(2)
	v_add3_u32 v12, v12, v6, v7
	s_waitcnt lgkmcnt(1)
	v_add3_u32 v12, v12, v2, v3
	;; [unrolled: 2-line block ×3, first 2 shown]
	v_mbcnt_lo_u32_b32 v5, -1, 0
	v_mbcnt_hi_u32_b32 v5, -1, v5
	v_and_b32_e32 v13, 15, v5
	v_mov_b32_dpp v14, v12 row_shr:1 row_mask:0xf bank_mask:0xf
	v_cmp_ne_u32_e32 vcc, 0, v13
	v_cndmask_b32_e32 v14, 0, v14, vcc
	v_add_u32_e32 v12, v14, v12
	v_cmp_lt_u32_e32 vcc, 1, v13
	s_nop 0
	v_mov_b32_dpp v14, v12 row_shr:2 row_mask:0xf bank_mask:0xf
	v_cndmask_b32_e32 v14, 0, v14, vcc
	v_add_u32_e32 v12, v12, v14
	v_cmp_lt_u32_e32 vcc, 3, v13
	s_nop 0
	v_mov_b32_dpp v14, v12 row_shr:4 row_mask:0xf bank_mask:0xf
	;; [unrolled: 5-line block ×3, first 2 shown]
	v_cndmask_b32_e32 v13, 0, v14, vcc
	v_add_u32_e32 v12, v12, v13
	v_bfe_i32 v14, v5, 4, 1
	v_cmp_lt_u32_e32 vcc, 31, v5
	v_mov_b32_dpp v13, v12 row_bcast:15 row_mask:0xf bank_mask:0xf
	v_and_b32_e32 v13, v14, v13
	v_add_u32_e32 v12, v12, v13
	v_and_b32_e32 v14, 0xc0, v0
	v_min_u32_e32 v14, 0x62, v14
	v_mov_b32_dpp v13, v12 row_bcast:31 row_mask:0xf bank_mask:0xf
	v_cndmask_b32_e32 v13, 0, v13, vcc
	v_add_u32_e32 v13, v12, v13
	v_lshrrev_b32_e32 v12, 6, v0
	v_add_u32_e32 v14, 63, v14
	v_cmp_eq_u32_e32 vcc, v14, v0
	v_lshlrev_b32_e32 v14, 2, v12
	s_and_saveexec_b64 s[0:1], vcc
	s_cbranch_execz .LBB41_8
; %bb.7:
	ds_write_b32 v14, v13 offset:5184
.LBB41_8:
	s_or_b64 exec, exec, s[0:1]
	v_cmp_gt_u32_e32 vcc, 3, v0
	v_lshlrev_b32_e32 v12, 2, v0
	s_waitcnt lgkmcnt(0)
	s_barrier
	s_and_saveexec_b64 s[0:1], vcc
	s_cbranch_execz .LBB41_10
; %bb.9:
	ds_read_b32 v15, v12 offset:5184
	v_and_b32_e32 v16, 3, v5
	v_cmp_ne_u32_e32 vcc, 0, v16
	s_waitcnt lgkmcnt(0)
	v_mov_b32_dpp v17, v15 row_shr:1 row_mask:0xf bank_mask:0xf
	v_cndmask_b32_e32 v17, 0, v17, vcc
	v_add_u32_e32 v15, v17, v15
	v_cmp_lt_u32_e32 vcc, 1, v16
	s_nop 0
	v_mov_b32_dpp v17, v15 row_shr:2 row_mask:0xf bank_mask:0xf
	v_cndmask_b32_e32 v16, 0, v17, vcc
	v_add_u32_e32 v15, v15, v16
	ds_write_b32 v12, v15 offset:5184
.LBB41_10:
	s_or_b64 exec, exec, s[0:1]
	v_cmp_lt_u32_e32 vcc, 63, v0
	v_mov_b32_e32 v0, 0
	v_mov_b32_e32 v15, 0
	s_waitcnt lgkmcnt(0)
	s_barrier
	s_and_saveexec_b64 s[0:1], vcc
	s_cbranch_execz .LBB41_12
; %bb.11:
	ds_read_b32 v15, v14 offset:5180
.LBB41_12:
	s_or_b64 exec, exec, s[0:1]
	v_add_u32_e32 v14, -1, v5
	v_and_b32_e32 v16, 64, v5
	v_cmp_lt_i32_e32 vcc, v14, v16
	v_cndmask_b32_e32 v14, v14, v5, vcc
	s_waitcnt lgkmcnt(0)
	v_add_u32_e32 v13, v15, v13
	v_lshlrev_b32_e32 v14, 2, v14
	ds_bpermute_b32 v13, v14, v13
	ds_read_b32 v0, v0 offset:5192
	v_cmp_eq_u32_e32 vcc, 0, v5
	s_add_u32 s0, s2, s6
	s_addc_u32 s1, s3, s7
	s_waitcnt lgkmcnt(1)
	v_cndmask_b32_e32 v5, v13, v15, vcc
	s_waitcnt lgkmcnt(0)
	v_lshl_add_u32 v0, v0, 16, v5
	v_add_u32_e32 v5, v0, v8
	v_add_u32_e32 v8, v5, v9
	;; [unrolled: 1-line block ×7, first 2 shown]
	ds_write2_b32 v11, v0, v5 offset1:1
	ds_write2_b32 v11, v8, v6 offset0:2 offset1:3
	ds_write2_b32 v11, v7, v2 offset0:4 offset1:5
	;; [unrolled: 1-line block ×3, first 2 shown]
	s_waitcnt lgkmcnt(0)
	s_barrier
	ds_read_u16 v0, v1
	s_waitcnt lgkmcnt(0)
	v_add_u32_sdwa v0, v0, v10 dst_sel:DWORD dst_unused:UNUSED_PAD src0_sel:DWORD src1_sel:WORD_0
	global_store_dword v12, v0, s[0:1]
	s_endpgm
	.section	.rodata,"a",@progbits
	.p2align	6, 0x0
	.amdhsa_kernel _Z11rank_kernelILj162ELj1ELj4ELb0EL18RadixRankAlgorithm1EjEvPKT4_Pijj
		.amdhsa_group_segment_fixed_size 5200
		.amdhsa_private_segment_fixed_size 0
		.amdhsa_kernarg_size 24
		.amdhsa_user_sgpr_count 6
		.amdhsa_user_sgpr_private_segment_buffer 1
		.amdhsa_user_sgpr_dispatch_ptr 0
		.amdhsa_user_sgpr_queue_ptr 0
		.amdhsa_user_sgpr_kernarg_segment_ptr 1
		.amdhsa_user_sgpr_dispatch_id 0
		.amdhsa_user_sgpr_flat_scratch_init 0
		.amdhsa_user_sgpr_kernarg_preload_length 0
		.amdhsa_user_sgpr_kernarg_preload_offset 0
		.amdhsa_user_sgpr_private_segment_size 0
		.amdhsa_uses_dynamic_stack 0
		.amdhsa_system_sgpr_private_segment_wavefront_offset 0
		.amdhsa_system_sgpr_workgroup_id_x 1
		.amdhsa_system_sgpr_workgroup_id_y 0
		.amdhsa_system_sgpr_workgroup_id_z 0
		.amdhsa_system_sgpr_workgroup_info 0
		.amdhsa_system_vgpr_workitem_id 0
		.amdhsa_next_free_vgpr 18
		.amdhsa_next_free_sgpr 14
		.amdhsa_accum_offset 20
		.amdhsa_reserve_vcc 1
		.amdhsa_reserve_flat_scratch 0
		.amdhsa_float_round_mode_32 0
		.amdhsa_float_round_mode_16_64 0
		.amdhsa_float_denorm_mode_32 3
		.amdhsa_float_denorm_mode_16_64 3
		.amdhsa_dx10_clamp 1
		.amdhsa_ieee_mode 1
		.amdhsa_fp16_overflow 0
		.amdhsa_tg_split 0
		.amdhsa_exception_fp_ieee_invalid_op 0
		.amdhsa_exception_fp_denorm_src 0
		.amdhsa_exception_fp_ieee_div_zero 0
		.amdhsa_exception_fp_ieee_overflow 0
		.amdhsa_exception_fp_ieee_underflow 0
		.amdhsa_exception_fp_ieee_inexact 0
		.amdhsa_exception_int_div_zero 0
	.end_amdhsa_kernel
	.section	.text._Z11rank_kernelILj162ELj1ELj4ELb0EL18RadixRankAlgorithm1EjEvPKT4_Pijj,"axG",@progbits,_Z11rank_kernelILj162ELj1ELj4ELb0EL18RadixRankAlgorithm1EjEvPKT4_Pijj,comdat
.Lfunc_end41:
	.size	_Z11rank_kernelILj162ELj1ELj4ELb0EL18RadixRankAlgorithm1EjEvPKT4_Pijj, .Lfunc_end41-_Z11rank_kernelILj162ELj1ELj4ELb0EL18RadixRankAlgorithm1EjEvPKT4_Pijj
                                        ; -- End function
	.section	.AMDGPU.csdata,"",@progbits
; Kernel info:
; codeLenInByte = 944
; NumSgprs: 18
; NumVgprs: 18
; NumAgprs: 0
; TotalNumVgprs: 18
; ScratchSize: 0
; MemoryBound: 0
; FloatMode: 240
; IeeeMode: 1
; LDSByteSize: 5200 bytes/workgroup (compile time only)
; SGPRBlocks: 2
; VGPRBlocks: 2
; NumSGPRsForWavesPerEU: 18
; NumVGPRsForWavesPerEU: 18
; AccumOffset: 20
; Occupancy: 8
; WaveLimiterHint : 0
; COMPUTE_PGM_RSRC2:SCRATCH_EN: 0
; COMPUTE_PGM_RSRC2:USER_SGPR: 6
; COMPUTE_PGM_RSRC2:TRAP_HANDLER: 0
; COMPUTE_PGM_RSRC2:TGID_X_EN: 1
; COMPUTE_PGM_RSRC2:TGID_Y_EN: 0
; COMPUTE_PGM_RSRC2:TGID_Z_EN: 0
; COMPUTE_PGM_RSRC2:TIDIG_COMP_CNT: 0
; COMPUTE_PGM_RSRC3_GFX90A:ACCUM_OFFSET: 4
; COMPUTE_PGM_RSRC3_GFX90A:TG_SPLIT: 0
	.section	.text._Z11rank_kernelILj510ELj1ELj4ELb1EL18RadixRankAlgorithm1ExEvPKT4_Pijj,"axG",@progbits,_Z11rank_kernelILj510ELj1ELj4ELb1EL18RadixRankAlgorithm1ExEvPKT4_Pijj,comdat
	.protected	_Z11rank_kernelILj510ELj1ELj4ELb1EL18RadixRankAlgorithm1ExEvPKT4_Pijj ; -- Begin function _Z11rank_kernelILj510ELj1ELj4ELb1EL18RadixRankAlgorithm1ExEvPKT4_Pijj
	.globl	_Z11rank_kernelILj510ELj1ELj4ELb1EL18RadixRankAlgorithm1ExEvPKT4_Pijj
	.p2align	8
	.type	_Z11rank_kernelILj510ELj1ELj4ELb1EL18RadixRankAlgorithm1ExEvPKT4_Pijj,@function
_Z11rank_kernelILj510ELj1ELj4ELb1EL18RadixRankAlgorithm1ExEvPKT4_Pijj: ; @_Z11rank_kernelILj510ELj1ELj4ELb1EL18RadixRankAlgorithm1ExEvPKT4_Pijj
; %bb.0:
	s_load_dwordx4 s[0:3], s[4:5], 0x0
	s_mulk_i32 s6, 0x1fe
	s_mov_b32 s7, 0
	s_lshl_b64 s[8:9], s[6:7], 3
	v_lshlrev_b32_e32 v1, 3, v0
	s_waitcnt lgkmcnt(0)
	s_add_u32 s0, s0, s8
	s_addc_u32 s1, s1, s9
	global_load_dwordx2 v[2:3], v1, s[0:1]
	v_sub_u32_e32 v1, 0xdf1, v0
	v_mul_hi_u32_u24_e32 v1, 0x808081, v1
	v_add_u32_e32 v4, 3, v1
	v_and_b32_e32 v9, 30, v4
	v_add_u32_e32 v4, 1, v1
	v_add_u32_e32 v1, 0x1fe, v0
	v_mov_b32_e32 v8, 0
	v_mov_b32_e32 v5, v4
	s_mov_b64 s[8:9], 0
	s_mov_b32 s12, s7
	v_pk_mov_b32 v[6:7], v[0:1], v[0:1] op_sel:[0,1]
	s_branch .LBB42_2
.LBB42_1:                               ;   in Loop: Header=BB42_2 Depth=1
	s_or_b64 exec, exec, s[0:1]
	s_add_i32 s12, s12, 2
	v_cmp_eq_u32_e32 vcc, s12, v9
	v_add_u32_e32 v7, 0x3fc, v7
	s_or_b64 s[8:9], vcc, s[8:9]
	v_add_u32_e32 v6, 0x3fc, v6
	s_andn2_b64 exec, exec, s[8:9]
	s_cbranch_execz .LBB42_6
.LBB42_2:                               ; =>This Inner Loop Header: Depth=1
	s_or_b32 s0, s12, 1
	v_cmp_le_u32_e32 vcc, s0, v5
	v_cmp_le_u32_e64 s[0:1], s12, v4
	s_and_saveexec_b64 s[10:11], s[0:1]
	s_cbranch_execz .LBB42_4
; %bb.3:                                ;   in Loop: Header=BB42_2 Depth=1
	v_lshlrev_b32_e32 v1, 2, v6
	ds_write_b32 v1, v8
.LBB42_4:                               ;   in Loop: Header=BB42_2 Depth=1
	s_or_b64 exec, exec, s[10:11]
	s_and_saveexec_b64 s[0:1], vcc
	s_cbranch_execz .LBB42_1
; %bb.5:                                ;   in Loop: Header=BB42_2 Depth=1
	v_lshlrev_b32_e32 v1, 2, v7
	ds_write_b32 v1, v8
	s_branch .LBB42_1
.LBB42_6:
	s_or_b64 exec, exec, s[8:9]
	s_load_dwordx2 s[0:1], s[4:5], 0x10
	s_waitcnt lgkmcnt(0)
	s_and_b32 s1, s1, 63
	s_cmp_eq_u32 s1, 0
	s_cbranch_scc1 .LBB42_8
; %bb.7:
	s_and_b32 s0, s0, 63
	s_add_i32 s0, s0, s1
	s_waitcnt vmcnt(0)
	v_xor_b32_e32 v3, 0x80000000, v3
	s_sub_i32 s0, 64, s0
	v_lshlrev_b64 v[2:3], s0, v[2:3]
	s_sub_i32 s0, 64, s1
	v_lshrrev_b64 v[2:3], s0, v[2:3]
	v_xor_b32_e32 v1, 15, v2
	s_branch .LBB42_9
.LBB42_8:
	v_mov_b32_e32 v1, 15
.LBB42_9:
	s_waitcnt vmcnt(0)
	v_and_b32_e32 v2, 7, v1
	v_mul_u32_u24_e32 v2, 0x1fe, v2
	v_lshrrev_b32_e32 v1, 3, v1
	v_add_lshl_u32 v2, v2, v0, 1
	v_add_lshl_u32 v1, v2, v1, 1
	ds_read_u16 v10, v1
	v_lshlrev_b32_e32 v11, 5, v0
	s_waitcnt lgkmcnt(0)
	v_add_u16_e32 v2, 1, v10
	ds_write_b16 v1, v2
	s_waitcnt lgkmcnt(0)
	s_barrier
	ds_read2_b32 v[8:9], v11 offset1:1
	ds_read2_b32 v[6:7], v11 offset0:2 offset1:3
	ds_read2_b32 v[2:3], v11 offset0:4 offset1:5
	;; [unrolled: 1-line block ×3, first 2 shown]
	s_waitcnt lgkmcnt(3)
	v_add_u32_e32 v12, v9, v8
	s_waitcnt lgkmcnt(2)
	v_add3_u32 v12, v12, v6, v7
	s_waitcnt lgkmcnt(1)
	v_add3_u32 v12, v12, v2, v3
	;; [unrolled: 2-line block ×3, first 2 shown]
	v_mbcnt_lo_u32_b32 v5, -1, 0
	v_mbcnt_hi_u32_b32 v5, -1, v5
	v_and_b32_e32 v13, 15, v5
	v_mov_b32_dpp v14, v12 row_shr:1 row_mask:0xf bank_mask:0xf
	v_cmp_ne_u32_e32 vcc, 0, v13
	v_cndmask_b32_e32 v14, 0, v14, vcc
	v_add_u32_e32 v12, v14, v12
	v_cmp_lt_u32_e32 vcc, 1, v13
	s_nop 0
	v_mov_b32_dpp v14, v12 row_shr:2 row_mask:0xf bank_mask:0xf
	v_cndmask_b32_e32 v14, 0, v14, vcc
	v_add_u32_e32 v12, v12, v14
	v_cmp_lt_u32_e32 vcc, 3, v13
	s_nop 0
	v_mov_b32_dpp v14, v12 row_shr:4 row_mask:0xf bank_mask:0xf
	;; [unrolled: 5-line block ×3, first 2 shown]
	v_cndmask_b32_e32 v13, 0, v14, vcc
	v_add_u32_e32 v12, v12, v13
	v_bfe_i32 v14, v5, 4, 1
	v_cmp_lt_u32_e32 vcc, 31, v5
	v_mov_b32_dpp v13, v12 row_bcast:15 row_mask:0xf bank_mask:0xf
	v_and_b32_e32 v13, v14, v13
	v_add_u32_e32 v12, v12, v13
	v_and_b32_e32 v14, 0x1c0, v0
	v_min_u32_e32 v14, 0x1be, v14
	v_mov_b32_dpp v13, v12 row_bcast:31 row_mask:0xf bank_mask:0xf
	v_cndmask_b32_e32 v13, 0, v13, vcc
	v_add_u32_e32 v13, v12, v13
	v_lshrrev_b32_e32 v12, 6, v0
	v_add_u32_e32 v14, 63, v14
	v_cmp_eq_u32_e32 vcc, v14, v0
	v_lshlrev_b32_e32 v14, 2, v12
	s_and_saveexec_b64 s[0:1], vcc
	s_cbranch_execz .LBB42_11
; %bb.10:
	ds_write_b32 v14, v13 offset:16320
.LBB42_11:
	s_or_b64 exec, exec, s[0:1]
	v_cmp_gt_u32_e32 vcc, 8, v0
	v_lshlrev_b32_e32 v12, 2, v0
	s_waitcnt lgkmcnt(0)
	s_barrier
	s_and_saveexec_b64 s[0:1], vcc
	s_cbranch_execz .LBB42_13
; %bb.12:
	ds_read_b32 v15, v12 offset:16320
	v_and_b32_e32 v16, 7, v5
	v_cmp_ne_u32_e32 vcc, 0, v16
	s_waitcnt lgkmcnt(0)
	v_mov_b32_dpp v17, v15 row_shr:1 row_mask:0xf bank_mask:0xf
	v_cndmask_b32_e32 v17, 0, v17, vcc
	v_add_u32_e32 v15, v17, v15
	v_cmp_lt_u32_e32 vcc, 1, v16
	s_nop 0
	v_mov_b32_dpp v17, v15 row_shr:2 row_mask:0xf bank_mask:0xf
	v_cndmask_b32_e32 v17, 0, v17, vcc
	v_add_u32_e32 v15, v15, v17
	v_cmp_lt_u32_e32 vcc, 3, v16
	s_nop 0
	v_mov_b32_dpp v17, v15 row_shr:4 row_mask:0xf bank_mask:0xf
	v_cndmask_b32_e32 v16, 0, v17, vcc
	v_add_u32_e32 v15, v15, v16
	ds_write_b32 v12, v15 offset:16320
.LBB42_13:
	s_or_b64 exec, exec, s[0:1]
	v_cmp_lt_u32_e32 vcc, 63, v0
	v_mov_b32_e32 v0, 0
	v_mov_b32_e32 v15, 0
	s_waitcnt lgkmcnt(0)
	s_barrier
	s_and_saveexec_b64 s[0:1], vcc
	s_cbranch_execz .LBB42_15
; %bb.14:
	ds_read_b32 v15, v14 offset:16316
.LBB42_15:
	s_or_b64 exec, exec, s[0:1]
	v_add_u32_e32 v14, -1, v5
	v_and_b32_e32 v16, 64, v5
	v_cmp_lt_i32_e32 vcc, v14, v16
	v_cndmask_b32_e32 v14, v14, v5, vcc
	s_waitcnt lgkmcnt(0)
	v_add_u32_e32 v13, v15, v13
	v_lshlrev_b32_e32 v14, 2, v14
	ds_bpermute_b32 v13, v14, v13
	ds_read_b32 v0, v0 offset:16348
	v_cmp_eq_u32_e32 vcc, 0, v5
	s_lshl_b64 s[0:1], s[6:7], 2
	s_add_u32 s0, s2, s0
	s_waitcnt lgkmcnt(1)
	v_cndmask_b32_e32 v5, v13, v15, vcc
	s_waitcnt lgkmcnt(0)
	v_lshl_add_u32 v0, v0, 16, v5
	v_add_u32_e32 v5, v0, v8
	v_add_u32_e32 v8, v5, v9
	;; [unrolled: 1-line block ×7, first 2 shown]
	ds_write2_b32 v11, v0, v5 offset1:1
	ds_write2_b32 v11, v8, v6 offset0:2 offset1:3
	ds_write2_b32 v11, v7, v2 offset0:4 offset1:5
	;; [unrolled: 1-line block ×3, first 2 shown]
	s_waitcnt lgkmcnt(0)
	s_barrier
	ds_read_u16 v0, v1
	s_addc_u32 s1, s3, s1
	s_waitcnt lgkmcnt(0)
	v_add_u32_sdwa v0, v0, v10 dst_sel:DWORD dst_unused:UNUSED_PAD src0_sel:DWORD src1_sel:WORD_0
	global_store_dword v12, v0, s[0:1]
	s_endpgm
	.section	.rodata,"a",@progbits
	.p2align	6, 0x0
	.amdhsa_kernel _Z11rank_kernelILj510ELj1ELj4ELb1EL18RadixRankAlgorithm1ExEvPKT4_Pijj
		.amdhsa_group_segment_fixed_size 16352
		.amdhsa_private_segment_fixed_size 0
		.amdhsa_kernarg_size 24
		.amdhsa_user_sgpr_count 6
		.amdhsa_user_sgpr_private_segment_buffer 1
		.amdhsa_user_sgpr_dispatch_ptr 0
		.amdhsa_user_sgpr_queue_ptr 0
		.amdhsa_user_sgpr_kernarg_segment_ptr 1
		.amdhsa_user_sgpr_dispatch_id 0
		.amdhsa_user_sgpr_flat_scratch_init 0
		.amdhsa_user_sgpr_kernarg_preload_length 0
		.amdhsa_user_sgpr_kernarg_preload_offset 0
		.amdhsa_user_sgpr_private_segment_size 0
		.amdhsa_uses_dynamic_stack 0
		.amdhsa_system_sgpr_private_segment_wavefront_offset 0
		.amdhsa_system_sgpr_workgroup_id_x 1
		.amdhsa_system_sgpr_workgroup_id_y 0
		.amdhsa_system_sgpr_workgroup_id_z 0
		.amdhsa_system_sgpr_workgroup_info 0
		.amdhsa_system_vgpr_workitem_id 0
		.amdhsa_next_free_vgpr 18
		.amdhsa_next_free_sgpr 13
		.amdhsa_accum_offset 20
		.amdhsa_reserve_vcc 1
		.amdhsa_reserve_flat_scratch 0
		.amdhsa_float_round_mode_32 0
		.amdhsa_float_round_mode_16_64 0
		.amdhsa_float_denorm_mode_32 3
		.amdhsa_float_denorm_mode_16_64 3
		.amdhsa_dx10_clamp 1
		.amdhsa_ieee_mode 1
		.amdhsa_fp16_overflow 0
		.amdhsa_tg_split 0
		.amdhsa_exception_fp_ieee_invalid_op 0
		.amdhsa_exception_fp_denorm_src 0
		.amdhsa_exception_fp_ieee_div_zero 0
		.amdhsa_exception_fp_ieee_overflow 0
		.amdhsa_exception_fp_ieee_underflow 0
		.amdhsa_exception_fp_ieee_inexact 0
		.amdhsa_exception_int_div_zero 0
	.end_amdhsa_kernel
	.section	.text._Z11rank_kernelILj510ELj1ELj4ELb1EL18RadixRankAlgorithm1ExEvPKT4_Pijj,"axG",@progbits,_Z11rank_kernelILj510ELj1ELj4ELb1EL18RadixRankAlgorithm1ExEvPKT4_Pijj,comdat
.Lfunc_end42:
	.size	_Z11rank_kernelILj510ELj1ELj4ELb1EL18RadixRankAlgorithm1ExEvPKT4_Pijj, .Lfunc_end42-_Z11rank_kernelILj510ELj1ELj4ELb1EL18RadixRankAlgorithm1ExEvPKT4_Pijj
                                        ; -- End function
	.section	.AMDGPU.csdata,"",@progbits
; Kernel info:
; codeLenInByte = 992
; NumSgprs: 17
; NumVgprs: 18
; NumAgprs: 0
; TotalNumVgprs: 18
; ScratchSize: 0
; MemoryBound: 0
; FloatMode: 240
; IeeeMode: 1
; LDSByteSize: 16352 bytes/workgroup (compile time only)
; SGPRBlocks: 2
; VGPRBlocks: 2
; NumSGPRsForWavesPerEU: 17
; NumVGPRsForWavesPerEU: 18
; AccumOffset: 20
; Occupancy: 8
; WaveLimiterHint : 0
; COMPUTE_PGM_RSRC2:SCRATCH_EN: 0
; COMPUTE_PGM_RSRC2:USER_SGPR: 6
; COMPUTE_PGM_RSRC2:TRAP_HANDLER: 0
; COMPUTE_PGM_RSRC2:TGID_X_EN: 1
; COMPUTE_PGM_RSRC2:TGID_Y_EN: 0
; COMPUTE_PGM_RSRC2:TGID_Z_EN: 0
; COMPUTE_PGM_RSRC2:TIDIG_COMP_CNT: 0
; COMPUTE_PGM_RSRC3_GFX90A:ACCUM_OFFSET: 4
; COMPUTE_PGM_RSRC3_GFX90A:TG_SPLIT: 0
	.section	.text._Z11rank_kernelILj37ELj1ELj4ELb0EL18RadixRankAlgorithm1EfEvPKT4_Pijj,"axG",@progbits,_Z11rank_kernelILj37ELj1ELj4ELb0EL18RadixRankAlgorithm1EfEvPKT4_Pijj,comdat
	.protected	_Z11rank_kernelILj37ELj1ELj4ELb0EL18RadixRankAlgorithm1EfEvPKT4_Pijj ; -- Begin function _Z11rank_kernelILj37ELj1ELj4ELb0EL18RadixRankAlgorithm1EfEvPKT4_Pijj
	.globl	_Z11rank_kernelILj37ELj1ELj4ELb0EL18RadixRankAlgorithm1EfEvPKT4_Pijj
	.p2align	8
	.type	_Z11rank_kernelILj37ELj1ELj4ELb0EL18RadixRankAlgorithm1EfEvPKT4_Pijj,@function
_Z11rank_kernelILj37ELj1ELj4ELb0EL18RadixRankAlgorithm1EfEvPKT4_Pijj: ; @_Z11rank_kernelILj37ELj1ELj4ELb0EL18RadixRankAlgorithm1EfEvPKT4_Pijj
; %bb.0:
	s_load_dwordx4 s[0:3], s[4:5], 0x0
	s_mul_i32 s8, s6, 37
	s_mov_b32 s9, 0
	s_lshl_b64 s[6:7], s[8:9], 2
	v_lshlrev_b32_e32 v10, 2, v0
	s_waitcnt lgkmcnt(0)
	s_add_u32 s0, s0, s6
	s_addc_u32 s1, s1, s7
	global_load_dword v6, v10, s[0:1]
	s_movk_i32 s0, 0x128
	v_cmp_gt_u32_e32 vcc, s0, v0
	s_and_saveexec_b64 s[10:11], vcc
	s_cbranch_execz .LBB43_7
; %bb.1:
	s_movk_i32 s0, 0x103
	v_bfrev_b32_e32 v2, -4.0
	v_cmp_gt_u32_e32 vcc, s0, v0
	v_subb_co_u32_e64 v2, s[0:1], v2, v0, vcc
	s_mov_b32 s0, 0xbacf914d
	v_sub_u32_e32 v1, 0x103, v0
	v_mul_hi_u32 v2, v2, s0
	v_subb_co_u32_e64 v1, s[0:1], v1, v2, vcc
	v_lshrrev_b32_e32 v1, 1, v1
	v_add_u32_e32 v1, v1, v2
	v_lshrrev_b32_e32 v1, 5, v1
	v_addc_co_u32_e64 v2, s[0:1], 0, v1, vcc
	v_addc_co_u32_e32 v1, vcc, 2, v1, vcc
	v_and_b32_e32 v7, 0xffffffe, v1
	v_add_u32_e32 v1, 37, v0
	v_mov_b32_e32 v3, v2
	s_mov_b64 s[12:13], 0
	v_mov_b32_e32 v8, 0
	v_pk_mov_b32 v[4:5], v[0:1], v[0:1] op_sel:[0,1]
	s_branch .LBB43_3
.LBB43_2:                               ;   in Loop: Header=BB43_3 Depth=1
	s_or_b64 exec, exec, s[0:1]
	s_add_i32 s9, s9, 2
	v_cmp_eq_u32_e32 vcc, s9, v7
	v_add_u32_e32 v5, 0x4a, v5
	s_or_b64 s[12:13], vcc, s[12:13]
	v_add_u32_e32 v4, 0x4a, v4
	s_andn2_b64 exec, exec, s[12:13]
	s_cbranch_execz .LBB43_7
.LBB43_3:                               ; =>This Inner Loop Header: Depth=1
	s_or_b32 s0, s9, 1
	v_cmp_le_u32_e32 vcc, s0, v3
	v_cmp_le_u32_e64 s[0:1], s9, v2
	s_and_saveexec_b64 s[14:15], s[0:1]
	s_cbranch_execz .LBB43_5
; %bb.4:                                ;   in Loop: Header=BB43_3 Depth=1
	v_lshlrev_b32_e32 v1, 2, v4
	ds_write_b32 v1, v8
.LBB43_5:                               ;   in Loop: Header=BB43_3 Depth=1
	s_or_b64 exec, exec, s[14:15]
	s_and_saveexec_b64 s[0:1], vcc
	s_cbranch_execz .LBB43_2
; %bb.6:                                ;   in Loop: Header=BB43_3 Depth=1
	v_lshlrev_b32_e32 v1, 2, v5
	ds_write_b32 v1, v8
	s_branch .LBB43_2
.LBB43_7:
	s_or_b64 exec, exec, s[10:11]
	s_load_dwordx2 s[0:1], s[4:5], 0x10
	v_bfrev_b32_e32 v1, 1
	s_waitcnt vmcnt(0)
	v_cmp_lt_i32_e32 vcc, -1, v6
	v_cndmask_b32_e32 v2, -1, v1, vcc
	v_xor_b32_e32 v2, v2, v6
	s_brev_b32 s4, -2
	s_waitcnt lgkmcnt(0)
	s_and_b32 s1, s1, 31
	s_and_b32 s0, s0, 31
	v_cmp_ne_u32_e32 vcc, s4, v2
	s_add_i32 s0, s0, s1
	v_cndmask_b32_e32 v1, v1, v2, vcc
	s_sub_i32 s0, 32, s0
	v_lshlrev_b32_e32 v1, s0, v1
	s_sub_i32 s0, 32, s1
	s_cmp_lg_u32 s1, 0
	v_lshrrev_b32_e32 v1, s0, v1
	s_cselect_b64 vcc, -1, 0
	v_cndmask_b32_e32 v1, 0, v1, vcc
	v_and_b32_e32 v2, 7, v1
	v_mul_u32_u24_e32 v2, 37, v2
	v_lshrrev_b32_e32 v1, 3, v1
	v_add_lshl_u32 v2, v2, v0, 1
	v_add_lshl_u32 v1, v2, v1, 1
	ds_read_u16 v11, v1
	v_lshlrev_b32_e32 v12, 5, v0
	s_waitcnt lgkmcnt(0)
	v_add_u16_e32 v2, 1, v11
	ds_write_b16 v1, v2
	s_waitcnt lgkmcnt(0)
	; wave barrier
	s_waitcnt lgkmcnt(0)
	ds_read2_b32 v[8:9], v12 offset1:1
	ds_read2_b32 v[6:7], v12 offset0:2 offset1:3
	ds_read2_b32 v[2:3], v12 offset0:4 offset1:5
	;; [unrolled: 1-line block ×3, first 2 shown]
	s_waitcnt lgkmcnt(3)
	v_add_u32_e32 v13, v9, v8
	s_waitcnt lgkmcnt(2)
	v_add3_u32 v13, v13, v6, v7
	s_waitcnt lgkmcnt(1)
	v_add3_u32 v13, v13, v2, v3
	;; [unrolled: 2-line block ×3, first 2 shown]
	v_mbcnt_lo_u32_b32 v5, -1, 0
	v_mbcnt_hi_u32_b32 v5, -1, v5
	v_and_b32_e32 v14, 15, v5
	v_mov_b32_dpp v15, v13 row_shr:1 row_mask:0xf bank_mask:0xf
	v_cmp_ne_u32_e32 vcc, 0, v14
	v_cndmask_b32_e32 v15, 0, v15, vcc
	v_add_u32_e32 v13, v15, v13
	v_cmp_lt_u32_e32 vcc, 1, v14
	s_nop 0
	v_mov_b32_dpp v15, v13 row_shr:2 row_mask:0xf bank_mask:0xf
	v_cndmask_b32_e32 v15, 0, v15, vcc
	v_add_u32_e32 v13, v13, v15
	v_cmp_lt_u32_e32 vcc, 3, v14
	s_nop 0
	v_mov_b32_dpp v15, v13 row_shr:4 row_mask:0xf bank_mask:0xf
	;; [unrolled: 5-line block ×3, first 2 shown]
	v_cndmask_b32_e32 v14, 0, v15, vcc
	v_add_u32_e32 v13, v13, v14
	v_bfe_i32 v15, v5, 4, 1
	v_cmp_lt_u32_e32 vcc, 31, v5
	v_mov_b32_dpp v14, v13 row_bcast:15 row_mask:0xf bank_mask:0xf
	v_and_b32_e32 v14, v15, v14
	v_add_u32_e32 v13, v13, v14
	s_nop 1
	v_mov_b32_dpp v14, v13 row_bcast:31 row_mask:0xf bank_mask:0xf
	v_cndmask_b32_e32 v14, 0, v14, vcc
	v_add_u32_e32 v13, v13, v14
	v_cmp_eq_u32_e32 vcc, 36, v0
	s_and_saveexec_b64 s[0:1], vcc
	s_cbranch_execz .LBB43_9
; %bb.8:
	v_mov_b32_e32 v0, 0
	ds_write_b32 v0, v13 offset:1184
.LBB43_9:
	s_or_b64 exec, exec, s[0:1]
	v_add_u32_e32 v0, -1, v5
	v_and_b32_e32 v14, 64, v5
	v_cmp_lt_i32_e32 vcc, v0, v14
	v_cndmask_b32_e32 v0, v0, v5, vcc
	v_lshlrev_b32_e32 v0, 2, v0
	ds_bpermute_b32 v0, v0, v13
	v_mov_b32_e32 v13, 0
	s_waitcnt lgkmcnt(0)
	; wave barrier
	s_waitcnt lgkmcnt(0)
	ds_read_b32 v13, v13 offset:1184
	v_cmp_ne_u32_e32 vcc, 0, v5
	v_cndmask_b32_e32 v0, 0, v0, vcc
	s_add_u32 s0, s2, s6
	s_addc_u32 s1, s3, s7
	s_waitcnt lgkmcnt(0)
	v_lshl_add_u32 v0, v13, 16, v0
	v_add_u32_e32 v5, v0, v8
	v_add_u32_e32 v8, v5, v9
	;; [unrolled: 1-line block ×7, first 2 shown]
	ds_write2_b32 v12, v0, v5 offset1:1
	ds_write2_b32 v12, v8, v6 offset0:2 offset1:3
	ds_write2_b32 v12, v7, v2 offset0:4 offset1:5
	;; [unrolled: 1-line block ×3, first 2 shown]
	s_waitcnt lgkmcnt(0)
	; wave barrier
	s_waitcnt lgkmcnt(0)
	ds_read_u16 v0, v1
	s_waitcnt lgkmcnt(0)
	v_add_u32_sdwa v0, v0, v11 dst_sel:DWORD dst_unused:UNUSED_PAD src0_sel:DWORD src1_sel:WORD_0
	global_store_dword v10, v0, s[0:1]
	s_endpgm
	.section	.rodata,"a",@progbits
	.p2align	6, 0x0
	.amdhsa_kernel _Z11rank_kernelILj37ELj1ELj4ELb0EL18RadixRankAlgorithm1EfEvPKT4_Pijj
		.amdhsa_group_segment_fixed_size 1200
		.amdhsa_private_segment_fixed_size 0
		.amdhsa_kernarg_size 24
		.amdhsa_user_sgpr_count 6
		.amdhsa_user_sgpr_private_segment_buffer 1
		.amdhsa_user_sgpr_dispatch_ptr 0
		.amdhsa_user_sgpr_queue_ptr 0
		.amdhsa_user_sgpr_kernarg_segment_ptr 1
		.amdhsa_user_sgpr_dispatch_id 0
		.amdhsa_user_sgpr_flat_scratch_init 0
		.amdhsa_user_sgpr_kernarg_preload_length 0
		.amdhsa_user_sgpr_kernarg_preload_offset 0
		.amdhsa_user_sgpr_private_segment_size 0
		.amdhsa_uses_dynamic_stack 0
		.amdhsa_system_sgpr_private_segment_wavefront_offset 0
		.amdhsa_system_sgpr_workgroup_id_x 1
		.amdhsa_system_sgpr_workgroup_id_y 0
		.amdhsa_system_sgpr_workgroup_id_z 0
		.amdhsa_system_sgpr_workgroup_info 0
		.amdhsa_system_vgpr_workitem_id 0
		.amdhsa_next_free_vgpr 16
		.amdhsa_next_free_sgpr 16
		.amdhsa_accum_offset 16
		.amdhsa_reserve_vcc 1
		.amdhsa_reserve_flat_scratch 0
		.amdhsa_float_round_mode_32 0
		.amdhsa_float_round_mode_16_64 0
		.amdhsa_float_denorm_mode_32 3
		.amdhsa_float_denorm_mode_16_64 3
		.amdhsa_dx10_clamp 1
		.amdhsa_ieee_mode 1
		.amdhsa_fp16_overflow 0
		.amdhsa_tg_split 0
		.amdhsa_exception_fp_ieee_invalid_op 0
		.amdhsa_exception_fp_denorm_src 0
		.amdhsa_exception_fp_ieee_div_zero 0
		.amdhsa_exception_fp_ieee_overflow 0
		.amdhsa_exception_fp_ieee_underflow 0
		.amdhsa_exception_fp_ieee_inexact 0
		.amdhsa_exception_int_div_zero 0
	.end_amdhsa_kernel
	.section	.text._Z11rank_kernelILj37ELj1ELj4ELb0EL18RadixRankAlgorithm1EfEvPKT4_Pijj,"axG",@progbits,_Z11rank_kernelILj37ELj1ELj4ELb0EL18RadixRankAlgorithm1EfEvPKT4_Pijj,comdat
.Lfunc_end43:
	.size	_Z11rank_kernelILj37ELj1ELj4ELb0EL18RadixRankAlgorithm1EfEvPKT4_Pijj, .Lfunc_end43-_Z11rank_kernelILj37ELj1ELj4ELb0EL18RadixRankAlgorithm1EfEvPKT4_Pijj
                                        ; -- End function
	.section	.AMDGPU.csdata,"",@progbits
; Kernel info:
; codeLenInByte = 868
; NumSgprs: 20
; NumVgprs: 16
; NumAgprs: 0
; TotalNumVgprs: 16
; ScratchSize: 0
; MemoryBound: 0
; FloatMode: 240
; IeeeMode: 1
; LDSByteSize: 1200 bytes/workgroup (compile time only)
; SGPRBlocks: 2
; VGPRBlocks: 1
; NumSGPRsForWavesPerEU: 20
; NumVGPRsForWavesPerEU: 16
; AccumOffset: 16
; Occupancy: 8
; WaveLimiterHint : 0
; COMPUTE_PGM_RSRC2:SCRATCH_EN: 0
; COMPUTE_PGM_RSRC2:USER_SGPR: 6
; COMPUTE_PGM_RSRC2:TRAP_HANDLER: 0
; COMPUTE_PGM_RSRC2:TGID_X_EN: 1
; COMPUTE_PGM_RSRC2:TGID_Y_EN: 0
; COMPUTE_PGM_RSRC2:TGID_Z_EN: 0
; COMPUTE_PGM_RSRC2:TIDIG_COMP_CNT: 0
; COMPUTE_PGM_RSRC3_GFX90A:ACCUM_OFFSET: 3
; COMPUTE_PGM_RSRC3_GFX90A:TG_SPLIT: 0
	.section	.text._Z11rank_kernelILj65ELj1ELj4ELb0EL18RadixRankAlgorithm1EdEvPKT4_Pijj,"axG",@progbits,_Z11rank_kernelILj65ELj1ELj4ELb0EL18RadixRankAlgorithm1EdEvPKT4_Pijj,comdat
	.protected	_Z11rank_kernelILj65ELj1ELj4ELb0EL18RadixRankAlgorithm1EdEvPKT4_Pijj ; -- Begin function _Z11rank_kernelILj65ELj1ELj4ELb0EL18RadixRankAlgorithm1EdEvPKT4_Pijj
	.globl	_Z11rank_kernelILj65ELj1ELj4ELb0EL18RadixRankAlgorithm1EdEvPKT4_Pijj
	.p2align	8
	.type	_Z11rank_kernelILj65ELj1ELj4ELb0EL18RadixRankAlgorithm1EdEvPKT4_Pijj,@function
_Z11rank_kernelILj65ELj1ELj4ELb0EL18RadixRankAlgorithm1EdEvPKT4_Pijj: ; @_Z11rank_kernelILj65ELj1ELj4ELb0EL18RadixRankAlgorithm1EdEvPKT4_Pijj
; %bb.0:
	s_load_dwordx4 s[0:3], s[4:5], 0x0
	s_mulk_i32 s6, 0x41
	s_mov_b32 s7, 0
	s_lshl_b64 s[8:9], s[6:7], 3
	v_lshlrev_b32_e32 v1, 3, v0
	s_waitcnt lgkmcnt(0)
	s_add_u32 s0, s0, s8
	s_addc_u32 s1, s1, s9
	global_load_dwordx2 v[2:3], v1, s[0:1]
	s_movk_i32 s0, 0x208
	v_cmp_gt_u32_e32 vcc, s0, v0
	s_and_saveexec_b64 s[8:9], vcc
	s_cbranch_execz .LBB44_7
; %bb.1:
	s_movk_i32 s0, 0x1c7
	v_mov_b32_e32 v1, 0x1c7
	v_cmp_gt_u32_e32 vcc, s0, v0
	v_subb_co_u32_e64 v1, s[0:1], v1, v0, vcc
	s_mov_b32 s0, 0x3f03f04
	v_mul_hi_u32 v1, v1, s0
	v_addc_co_u32_e64 v4, s[0:1], 0, v1, vcc
	v_addc_co_u32_e32 v1, vcc, 2, v1, vcc
	v_and_b32_e32 v8, 14, v1
	v_add_u32_e32 v1, 0x41, v0
	v_mov_b32_e32 v5, v4
	s_mov_b64 s[10:11], 0
	v_mov_b32_e32 v9, 0
	s_mov_b32 s14, s7
	v_pk_mov_b32 v[6:7], v[0:1], v[0:1] op_sel:[0,1]
	s_branch .LBB44_3
.LBB44_2:                               ;   in Loop: Header=BB44_3 Depth=1
	s_or_b64 exec, exec, s[0:1]
	s_add_i32 s14, s14, 2
	v_cmp_eq_u32_e32 vcc, s14, v8
	v_add_u32_e32 v7, 0x82, v7
	s_or_b64 s[10:11], vcc, s[10:11]
	v_add_u32_e32 v6, 0x82, v6
	s_andn2_b64 exec, exec, s[10:11]
	s_cbranch_execz .LBB44_7
.LBB44_3:                               ; =>This Inner Loop Header: Depth=1
	s_or_b32 s0, s14, 1
	v_cmp_le_u32_e32 vcc, s0, v5
	v_cmp_le_u32_e64 s[0:1], s14, v4
	s_and_saveexec_b64 s[12:13], s[0:1]
	s_cbranch_execz .LBB44_5
; %bb.4:                                ;   in Loop: Header=BB44_3 Depth=1
	v_lshlrev_b32_e32 v1, 2, v6
	ds_write_b32 v1, v9
.LBB44_5:                               ;   in Loop: Header=BB44_3 Depth=1
	s_or_b64 exec, exec, s[12:13]
	s_and_saveexec_b64 s[0:1], vcc
	s_cbranch_execz .LBB44_2
; %bb.6:                                ;   in Loop: Header=BB44_3 Depth=1
	v_lshlrev_b32_e32 v1, 2, v7
	ds_write_b32 v1, v9
	s_branch .LBB44_2
.LBB44_7:
	s_or_b64 exec, exec, s[8:9]
	s_load_dwordx2 s[0:1], s[4:5], 0x10
	v_mov_b32_e32 v4, 0
	s_waitcnt lgkmcnt(0)
	s_and_b32 s1, s1, 63
	s_cmp_eq_u32 s1, 0
	s_cbranch_scc1 .LBB44_9
; %bb.8:
	v_bfrev_b32_e32 v1, 1
	s_waitcnt vmcnt(0)
	v_cmp_lt_i64_e32 vcc, -1, v[2:3]
	s_mov_b32 s4, -1
	v_cndmask_b32_e32 v4, -1, v1, vcc
	v_ashrrev_i32_e32 v5, 31, v3
	s_brev_b32 s5, -2
	v_xor_b32_e32 v3, v4, v3
	v_xor_b32_e32 v2, v5, v2
	s_and_b32 s0, s0, 63
	v_cmp_ne_u64_e32 vcc, s[4:5], v[2:3]
	s_add_i32 s0, s0, s1
	v_cndmask_b32_e32 v3, v1, v3, vcc
	v_cndmask_b32_e32 v2, 0, v2, vcc
	s_sub_i32 s0, 64, s0
	v_lshlrev_b64 v[2:3], s0, v[2:3]
	s_sub_i32 s0, 64, s1
	v_lshrrev_b64 v[4:5], s0, v[2:3]
.LBB44_9:
	v_and_b32_e32 v1, 7, v4
	v_mul_u32_u24_e32 v1, 0x41, v1
	s_waitcnt vmcnt(0)
	v_lshrrev_b32_e32 v2, 3, v4
	v_add_lshl_u32 v1, v1, v0, 1
	v_add_lshl_u32 v1, v1, v2, 1
	ds_read_u16 v10, v1
	v_lshlrev_b32_e32 v11, 5, v0
	v_cmp_gt_u32_e64 s[0:1], 64, v0
	s_waitcnt lgkmcnt(0)
	v_add_u16_e32 v2, 1, v10
	ds_write_b16 v1, v2
	s_waitcnt lgkmcnt(0)
	s_barrier
	ds_read2_b32 v[8:9], v11 offset1:1
	ds_read2_b32 v[6:7], v11 offset0:2 offset1:3
	ds_read2_b32 v[2:3], v11 offset0:4 offset1:5
	;; [unrolled: 1-line block ×3, first 2 shown]
	s_waitcnt lgkmcnt(3)
	v_add_u32_e32 v12, v9, v8
	s_waitcnt lgkmcnt(2)
	v_add3_u32 v12, v12, v6, v7
	s_waitcnt lgkmcnt(1)
	v_add3_u32 v12, v12, v2, v3
	s_waitcnt lgkmcnt(0)
	v_add3_u32 v12, v12, v4, v5
	v_mbcnt_lo_u32_b32 v5, -1, 0
	v_mbcnt_hi_u32_b32 v5, -1, v5
	v_and_b32_e32 v13, 15, v5
	v_mov_b32_dpp v14, v12 row_shr:1 row_mask:0xf bank_mask:0xf
	v_cmp_ne_u32_e32 vcc, 0, v13
	v_cndmask_b32_e32 v14, 0, v14, vcc
	v_add_u32_e32 v12, v14, v12
	v_cmp_lt_u32_e32 vcc, 1, v13
	s_nop 0
	v_mov_b32_dpp v14, v12 row_shr:2 row_mask:0xf bank_mask:0xf
	v_cndmask_b32_e32 v14, 0, v14, vcc
	v_add_u32_e32 v12, v12, v14
	v_cmp_lt_u32_e32 vcc, 3, v13
	s_nop 0
	v_mov_b32_dpp v14, v12 row_shr:4 row_mask:0xf bank_mask:0xf
	;; [unrolled: 5-line block ×3, first 2 shown]
	v_cndmask_b32_e32 v13, 0, v14, vcc
	v_add_u32_e32 v12, v12, v13
	v_bfe_i32 v14, v5, 4, 1
	v_cmp_lt_u32_e32 vcc, 31, v5
	v_mov_b32_dpp v13, v12 row_bcast:15 row_mask:0xf bank_mask:0xf
	v_and_b32_e32 v13, v14, v13
	v_add_u32_e32 v12, v12, v13
	v_cndmask_b32_e64 v14, 64, 63, s[0:1]
	v_cmp_eq_u32_e64 s[0:1], v14, v0
	v_mov_b32_dpp v13, v12 row_bcast:31 row_mask:0xf bank_mask:0xf
	v_cndmask_b32_e32 v13, 0, v13, vcc
	v_add_u32_e32 v12, v12, v13
	v_lshrrev_b32_e32 v13, 6, v0
	v_cmp_lt_u32_e32 vcc, 63, v0
	v_lshlrev_b32_e32 v13, 2, v13
	s_and_saveexec_b64 s[4:5], s[0:1]
	s_cbranch_execz .LBB44_11
; %bb.10:
	ds_write_b32 v13, v12 offset:2080
.LBB44_11:
	s_or_b64 exec, exec, s[4:5]
	v_cmp_gt_u32_e64 s[0:1], 2, v0
	v_lshlrev_b32_e32 v0, 2, v0
	s_waitcnt lgkmcnt(0)
	s_barrier
	s_and_saveexec_b64 s[4:5], s[0:1]
	s_cbranch_execz .LBB44_13
; %bb.12:
	ds_read_b32 v14, v0 offset:2080
	v_bfe_i32 v15, v5, 0, 1
	s_waitcnt lgkmcnt(0)
	v_mov_b32_dpp v16, v14 row_shr:1 row_mask:0xf bank_mask:0xf
	v_and_b32_e32 v15, v15, v16
	v_add_u32_e32 v14, v15, v14
	ds_write_b32 v0, v14 offset:2080
.LBB44_13:
	s_or_b64 exec, exec, s[4:5]
	v_mov_b32_e32 v14, 0
	v_mov_b32_e32 v15, 0
	s_waitcnt lgkmcnt(0)
	s_barrier
	s_and_saveexec_b64 s[0:1], vcc
	s_cbranch_execz .LBB44_15
; %bb.14:
	ds_read_b32 v15, v13 offset:2076
.LBB44_15:
	s_or_b64 exec, exec, s[0:1]
	v_add_u32_e32 v13, -1, v5
	v_and_b32_e32 v16, 64, v5
	v_cmp_lt_i32_e32 vcc, v13, v16
	v_cndmask_b32_e32 v13, v13, v5, vcc
	s_waitcnt lgkmcnt(0)
	v_add_u32_e32 v12, v15, v12
	v_lshlrev_b32_e32 v13, 2, v13
	ds_bpermute_b32 v12, v13, v12
	ds_read_b32 v13, v14 offset:2084
	v_cmp_eq_u32_e32 vcc, 0, v5
	s_lshl_b64 s[0:1], s[6:7], 2
	s_add_u32 s0, s2, s0
	s_waitcnt lgkmcnt(1)
	v_cndmask_b32_e32 v5, v12, v15, vcc
	s_waitcnt lgkmcnt(0)
	v_lshl_add_u32 v5, v13, 16, v5
	v_add_u32_e32 v8, v5, v8
	v_add_u32_e32 v9, v8, v9
	;; [unrolled: 1-line block ×7, first 2 shown]
	ds_write2_b32 v11, v5, v8 offset1:1
	ds_write2_b32 v11, v9, v6 offset0:2 offset1:3
	ds_write2_b32 v11, v7, v2 offset0:4 offset1:5
	;; [unrolled: 1-line block ×3, first 2 shown]
	s_waitcnt lgkmcnt(0)
	s_barrier
	ds_read_u16 v1, v1
	s_addc_u32 s1, s3, s1
	s_waitcnt lgkmcnt(0)
	v_add_u32_sdwa v1, v1, v10 dst_sel:DWORD dst_unused:UNUSED_PAD src0_sel:DWORD src1_sel:WORD_0
	global_store_dword v0, v1, s[0:1]
	s_endpgm
	.section	.rodata,"a",@progbits
	.p2align	6, 0x0
	.amdhsa_kernel _Z11rank_kernelILj65ELj1ELj4ELb0EL18RadixRankAlgorithm1EdEvPKT4_Pijj
		.amdhsa_group_segment_fixed_size 2096
		.amdhsa_private_segment_fixed_size 0
		.amdhsa_kernarg_size 24
		.amdhsa_user_sgpr_count 6
		.amdhsa_user_sgpr_private_segment_buffer 1
		.amdhsa_user_sgpr_dispatch_ptr 0
		.amdhsa_user_sgpr_queue_ptr 0
		.amdhsa_user_sgpr_kernarg_segment_ptr 1
		.amdhsa_user_sgpr_dispatch_id 0
		.amdhsa_user_sgpr_flat_scratch_init 0
		.amdhsa_user_sgpr_kernarg_preload_length 0
		.amdhsa_user_sgpr_kernarg_preload_offset 0
		.amdhsa_user_sgpr_private_segment_size 0
		.amdhsa_uses_dynamic_stack 0
		.amdhsa_system_sgpr_private_segment_wavefront_offset 0
		.amdhsa_system_sgpr_workgroup_id_x 1
		.amdhsa_system_sgpr_workgroup_id_y 0
		.amdhsa_system_sgpr_workgroup_id_z 0
		.amdhsa_system_sgpr_workgroup_info 0
		.amdhsa_system_vgpr_workitem_id 0
		.amdhsa_next_free_vgpr 17
		.amdhsa_next_free_sgpr 15
		.amdhsa_accum_offset 20
		.amdhsa_reserve_vcc 1
		.amdhsa_reserve_flat_scratch 0
		.amdhsa_float_round_mode_32 0
		.amdhsa_float_round_mode_16_64 0
		.amdhsa_float_denorm_mode_32 3
		.amdhsa_float_denorm_mode_16_64 3
		.amdhsa_dx10_clamp 1
		.amdhsa_ieee_mode 1
		.amdhsa_fp16_overflow 0
		.amdhsa_tg_split 0
		.amdhsa_exception_fp_ieee_invalid_op 0
		.amdhsa_exception_fp_denorm_src 0
		.amdhsa_exception_fp_ieee_div_zero 0
		.amdhsa_exception_fp_ieee_overflow 0
		.amdhsa_exception_fp_ieee_underflow 0
		.amdhsa_exception_fp_ieee_inexact 0
		.amdhsa_exception_int_div_zero 0
	.end_amdhsa_kernel
	.section	.text._Z11rank_kernelILj65ELj1ELj4ELb0EL18RadixRankAlgorithm1EdEvPKT4_Pijj,"axG",@progbits,_Z11rank_kernelILj65ELj1ELj4ELb0EL18RadixRankAlgorithm1EdEvPKT4_Pijj,comdat
.Lfunc_end44:
	.size	_Z11rank_kernelILj65ELj1ELj4ELb0EL18RadixRankAlgorithm1EdEvPKT4_Pijj, .Lfunc_end44-_Z11rank_kernelILj65ELj1ELj4ELb0EL18RadixRankAlgorithm1EdEvPKT4_Pijj
                                        ; -- End function
	.section	.AMDGPU.csdata,"",@progbits
; Kernel info:
; codeLenInByte = 1020
; NumSgprs: 19
; NumVgprs: 17
; NumAgprs: 0
; TotalNumVgprs: 17
; ScratchSize: 0
; MemoryBound: 0
; FloatMode: 240
; IeeeMode: 1
; LDSByteSize: 2096 bytes/workgroup (compile time only)
; SGPRBlocks: 2
; VGPRBlocks: 2
; NumSGPRsForWavesPerEU: 19
; NumVGPRsForWavesPerEU: 17
; AccumOffset: 20
; Occupancy: 8
; WaveLimiterHint : 0
; COMPUTE_PGM_RSRC2:SCRATCH_EN: 0
; COMPUTE_PGM_RSRC2:USER_SGPR: 6
; COMPUTE_PGM_RSRC2:TRAP_HANDLER: 0
; COMPUTE_PGM_RSRC2:TGID_X_EN: 1
; COMPUTE_PGM_RSRC2:TGID_Y_EN: 0
; COMPUTE_PGM_RSRC2:TGID_Z_EN: 0
; COMPUTE_PGM_RSRC2:TIDIG_COMP_CNT: 0
; COMPUTE_PGM_RSRC3_GFX90A:ACCUM_OFFSET: 4
; COMPUTE_PGM_RSRC3_GFX90A:TG_SPLIT: 0
	.section	.text._Z11rank_kernelILj512ELj1ELj4ELb1EL18RadixRankAlgorithm1EtEvPKT4_Pijj,"axG",@progbits,_Z11rank_kernelILj512ELj1ELj4ELb1EL18RadixRankAlgorithm1EtEvPKT4_Pijj,comdat
	.protected	_Z11rank_kernelILj512ELj1ELj4ELb1EL18RadixRankAlgorithm1EtEvPKT4_Pijj ; -- Begin function _Z11rank_kernelILj512ELj1ELj4ELb1EL18RadixRankAlgorithm1EtEvPKT4_Pijj
	.globl	_Z11rank_kernelILj512ELj1ELj4ELb1EL18RadixRankAlgorithm1EtEvPKT4_Pijj
	.p2align	8
	.type	_Z11rank_kernelILj512ELj1ELj4ELb1EL18RadixRankAlgorithm1EtEvPKT4_Pijj,@function
_Z11rank_kernelILj512ELj1ELj4ELb1EL18RadixRankAlgorithm1EtEvPKT4_Pijj: ; @_Z11rank_kernelILj512ELj1ELj4ELb1EL18RadixRankAlgorithm1EtEvPKT4_Pijj
; %bb.0:
	s_load_dwordx4 s[0:3], s[4:5], 0x0
	s_lshl_b32 s6, s6, 9
	s_mov_b32 s7, 0
	s_lshl_b64 s[8:9], s[6:7], 1
	v_lshlrev_b32_e32 v1, 1, v0
	s_waitcnt lgkmcnt(0)
	s_add_u32 s0, s0, s8
	s_addc_u32 s1, s1, s9
	global_load_ushort v2, v1, s[0:1]
	v_lshlrev_b32_e32 v1, 2, v0
	v_mov_b32_e32 v4, 0
	v_or_b32_e32 v3, 0xa00, v0
	v_or_b32_e32 v5, 0x800, v0
	s_mov_b64 s[0:1], -1
	ds_write2st64_b32 v1, v4, v4 offset1:8
	ds_write2st64_b32 v1, v4, v4 offset0:16 offset1:24
	s_and_saveexec_b64 s[8:9], s[0:1]
	s_cbranch_execz .LBB45_2
; %bb.1:
	v_lshlrev_b32_e32 v5, 2, v5
	ds_write_b32 v5, v4
.LBB45_2:
	s_or_b64 exec, exec, s[8:9]
	s_and_saveexec_b64 s[8:9], s[0:1]
	s_cbranch_execz .LBB45_4
; %bb.3:
	v_lshlrev_b32_e32 v3, 2, v3
	v_mov_b32_e32 v4, 0
	ds_write_b32 v3, v4
.LBB45_4:
	s_or_b64 exec, exec, s[8:9]
	v_or_b32_e32 v3, 0xe00, v0
	v_or_b32_e32 v4, 0xc00, v0
	v_cmp_gt_u32_e64 s[0:1], 7, 6
	v_cmp_gt_u32_e64 s[10:11], 7, 5
	s_and_saveexec_b64 s[8:9], s[10:11]
	s_cbranch_execz .LBB45_6
; %bb.5:
	v_lshlrev_b32_e32 v4, 2, v4
	v_mov_b32_e32 v5, 0
	ds_write_b32 v4, v5
.LBB45_6:
	s_or_b64 exec, exec, s[8:9]
	s_and_saveexec_b64 s[8:9], s[0:1]
	s_cbranch_execz .LBB45_8
; %bb.7:
	v_lshlrev_b32_e32 v3, 2, v3
	v_mov_b32_e32 v4, 0
	ds_write_b32 v3, v4
.LBB45_8:
	s_or_b64 exec, exec, s[8:9]
	s_load_dwordx2 s[0:1], s[4:5], 0x10
	v_lshlrev_b32_e32 v12, 5, v0
	s_waitcnt lgkmcnt(0)
	s_and_b32 s1, s1, 31
	s_and_b32 s0, s0, 31
	s_add_i32 s0, s0, s1
	s_sub_i32 s0, 32, s0
	s_sub_i32 s4, 32, s1
	s_waitcnt vmcnt(0)
	v_lshlrev_b32_sdwa v2, s0, v2 dst_sel:DWORD dst_unused:UNUSED_PAD src0_sel:DWORD src1_sel:WORD_0
	s_cmp_lg_u32 s1, 0
	v_bfe_u32 v2, v2, s4, 16
	v_xor_b32_e32 v2, 15, v2
	s_cselect_b64 vcc, -1, 0
	v_cndmask_b32_e32 v2, 15, v2, vcc
	v_lshrrev_b32_e32 v3, 3, v2
	v_lshlrev_b32_e32 v2, 9, v2
	s_movk_i32 s0, 0xe00
	v_and_or_b32 v2, v2, s0, v0
	v_lshlrev_b32_e32 v2, 1, v2
	v_add_lshl_u32 v10, v2, v3, 1
	ds_read_u16 v11, v10
	s_waitcnt lgkmcnt(0)
	v_add_u16_e32 v2, 1, v11
	ds_write_b16 v10, v2
	s_waitcnt lgkmcnt(0)
	s_barrier
	ds_read2_b32 v[8:9], v12 offset1:1
	ds_read2_b32 v[6:7], v12 offset0:2 offset1:3
	ds_read2_b32 v[2:3], v12 offset0:4 offset1:5
	ds_read2_b32 v[4:5], v12 offset0:6 offset1:7
	s_waitcnt lgkmcnt(3)
	v_add_u32_e32 v13, v9, v8
	s_waitcnt lgkmcnt(2)
	v_add3_u32 v13, v13, v6, v7
	s_waitcnt lgkmcnt(1)
	v_add3_u32 v13, v13, v2, v3
	;; [unrolled: 2-line block ×3, first 2 shown]
	v_mbcnt_lo_u32_b32 v5, -1, 0
	v_mbcnt_hi_u32_b32 v5, -1, v5
	v_and_b32_e32 v14, 15, v5
	v_mov_b32_dpp v15, v13 row_shr:1 row_mask:0xf bank_mask:0xf
	v_cmp_ne_u32_e32 vcc, 0, v14
	v_cndmask_b32_e32 v15, 0, v15, vcc
	v_add_u32_e32 v13, v15, v13
	v_cmp_lt_u32_e32 vcc, 1, v14
	s_nop 0
	v_mov_b32_dpp v15, v13 row_shr:2 row_mask:0xf bank_mask:0xf
	v_cndmask_b32_e32 v15, 0, v15, vcc
	v_add_u32_e32 v13, v13, v15
	v_cmp_lt_u32_e32 vcc, 3, v14
	s_nop 0
	v_mov_b32_dpp v15, v13 row_shr:4 row_mask:0xf bank_mask:0xf
	;; [unrolled: 5-line block ×3, first 2 shown]
	v_cndmask_b32_e32 v14, 0, v15, vcc
	v_add_u32_e32 v13, v13, v14
	v_bfe_i32 v15, v5, 4, 1
	v_cmp_lt_u32_e32 vcc, 31, v5
	v_mov_b32_dpp v14, v13 row_bcast:15 row_mask:0xf bank_mask:0xf
	v_and_b32_e32 v14, v15, v14
	v_add_u32_e32 v13, v13, v14
	v_or_b32_e32 v15, 63, v0
	s_nop 0
	v_mov_b32_dpp v14, v13 row_bcast:31 row_mask:0xf bank_mask:0xf
	v_cndmask_b32_e32 v14, 0, v14, vcc
	v_add_u32_e32 v13, v13, v14
	v_lshrrev_b32_e32 v14, 6, v0
	v_cmp_eq_u32_e32 vcc, v15, v0
	v_lshlrev_b32_e32 v14, 2, v14
	s_and_saveexec_b64 s[0:1], vcc
	s_cbranch_execz .LBB45_10
; %bb.9:
	ds_write_b32 v14, v13 offset:16384
.LBB45_10:
	s_or_b64 exec, exec, s[0:1]
	v_cmp_gt_u32_e32 vcc, 8, v0
	s_waitcnt lgkmcnt(0)
	s_barrier
	s_and_saveexec_b64 s[0:1], vcc
	s_cbranch_execz .LBB45_12
; %bb.11:
	ds_read_b32 v15, v1 offset:16384
	v_and_b32_e32 v16, 7, v5
	v_cmp_ne_u32_e32 vcc, 0, v16
	s_waitcnt lgkmcnt(0)
	v_mov_b32_dpp v17, v15 row_shr:1 row_mask:0xf bank_mask:0xf
	v_cndmask_b32_e32 v17, 0, v17, vcc
	v_add_u32_e32 v15, v17, v15
	v_cmp_lt_u32_e32 vcc, 1, v16
	s_nop 0
	v_mov_b32_dpp v17, v15 row_shr:2 row_mask:0xf bank_mask:0xf
	v_cndmask_b32_e32 v17, 0, v17, vcc
	v_add_u32_e32 v15, v15, v17
	v_cmp_lt_u32_e32 vcc, 3, v16
	s_nop 0
	v_mov_b32_dpp v17, v15 row_shr:4 row_mask:0xf bank_mask:0xf
	v_cndmask_b32_e32 v16, 0, v17, vcc
	v_add_u32_e32 v15, v15, v16
	ds_write_b32 v1, v15 offset:16384
.LBB45_12:
	s_or_b64 exec, exec, s[0:1]
	v_cmp_lt_u32_e32 vcc, 63, v0
	v_mov_b32_e32 v0, 0
	v_mov_b32_e32 v15, 0
	s_waitcnt lgkmcnt(0)
	s_barrier
	s_and_saveexec_b64 s[0:1], vcc
	s_cbranch_execz .LBB45_14
; %bb.13:
	ds_read_b32 v15, v14 offset:16380
.LBB45_14:
	s_or_b64 exec, exec, s[0:1]
	v_add_u32_e32 v14, -1, v5
	v_and_b32_e32 v16, 64, v5
	v_cmp_lt_i32_e32 vcc, v14, v16
	v_cndmask_b32_e32 v14, v14, v5, vcc
	s_waitcnt lgkmcnt(0)
	v_add_u32_e32 v13, v15, v13
	v_lshlrev_b32_e32 v14, 2, v14
	ds_bpermute_b32 v13, v14, v13
	ds_read_b32 v0, v0 offset:16412
	v_cmp_eq_u32_e32 vcc, 0, v5
	s_lshl_b64 s[0:1], s[6:7], 2
	s_add_u32 s0, s2, s0
	s_waitcnt lgkmcnt(1)
	v_cndmask_b32_e32 v5, v13, v15, vcc
	s_waitcnt lgkmcnt(0)
	v_lshl_add_u32 v0, v0, 16, v5
	v_add_u32_e32 v5, v0, v8
	v_add_u32_e32 v8, v5, v9
	;; [unrolled: 1-line block ×7, first 2 shown]
	ds_write2_b32 v12, v0, v5 offset1:1
	ds_write2_b32 v12, v8, v6 offset0:2 offset1:3
	ds_write2_b32 v12, v7, v2 offset0:4 offset1:5
	;; [unrolled: 1-line block ×3, first 2 shown]
	s_waitcnt lgkmcnt(0)
	s_barrier
	ds_read_u16 v0, v10
	s_addc_u32 s1, s3, s1
	s_waitcnt lgkmcnt(0)
	v_add_u32_sdwa v0, v0, v11 dst_sel:DWORD dst_unused:UNUSED_PAD src0_sel:DWORD src1_sel:WORD_0
	global_store_dword v1, v0, s[0:1]
	s_endpgm
	.section	.rodata,"a",@progbits
	.p2align	6, 0x0
	.amdhsa_kernel _Z11rank_kernelILj512ELj1ELj4ELb1EL18RadixRankAlgorithm1EtEvPKT4_Pijj
		.amdhsa_group_segment_fixed_size 16416
		.amdhsa_private_segment_fixed_size 0
		.amdhsa_kernarg_size 24
		.amdhsa_user_sgpr_count 6
		.amdhsa_user_sgpr_private_segment_buffer 1
		.amdhsa_user_sgpr_dispatch_ptr 0
		.amdhsa_user_sgpr_queue_ptr 0
		.amdhsa_user_sgpr_kernarg_segment_ptr 1
		.amdhsa_user_sgpr_dispatch_id 0
		.amdhsa_user_sgpr_flat_scratch_init 0
		.amdhsa_user_sgpr_kernarg_preload_length 0
		.amdhsa_user_sgpr_kernarg_preload_offset 0
		.amdhsa_user_sgpr_private_segment_size 0
		.amdhsa_uses_dynamic_stack 0
		.amdhsa_system_sgpr_private_segment_wavefront_offset 0
		.amdhsa_system_sgpr_workgroup_id_x 1
		.amdhsa_system_sgpr_workgroup_id_y 0
		.amdhsa_system_sgpr_workgroup_id_z 0
		.amdhsa_system_sgpr_workgroup_info 0
		.amdhsa_system_vgpr_workitem_id 0
		.amdhsa_next_free_vgpr 18
		.amdhsa_next_free_sgpr 12
		.amdhsa_accum_offset 20
		.amdhsa_reserve_vcc 1
		.amdhsa_reserve_flat_scratch 0
		.amdhsa_float_round_mode_32 0
		.amdhsa_float_round_mode_16_64 0
		.amdhsa_float_denorm_mode_32 3
		.amdhsa_float_denorm_mode_16_64 3
		.amdhsa_dx10_clamp 1
		.amdhsa_ieee_mode 1
		.amdhsa_fp16_overflow 0
		.amdhsa_tg_split 0
		.amdhsa_exception_fp_ieee_invalid_op 0
		.amdhsa_exception_fp_denorm_src 0
		.amdhsa_exception_fp_ieee_div_zero 0
		.amdhsa_exception_fp_ieee_overflow 0
		.amdhsa_exception_fp_ieee_underflow 0
		.amdhsa_exception_fp_ieee_inexact 0
		.amdhsa_exception_int_div_zero 0
	.end_amdhsa_kernel
	.section	.text._Z11rank_kernelILj512ELj1ELj4ELb1EL18RadixRankAlgorithm1EtEvPKT4_Pijj,"axG",@progbits,_Z11rank_kernelILj512ELj1ELj4ELb1EL18RadixRankAlgorithm1EtEvPKT4_Pijj,comdat
.Lfunc_end45:
	.size	_Z11rank_kernelILj512ELj1ELj4ELb1EL18RadixRankAlgorithm1EtEvPKT4_Pijj, .Lfunc_end45-_Z11rank_kernelILj512ELj1ELj4ELb1EL18RadixRankAlgorithm1EtEvPKT4_Pijj
                                        ; -- End function
	.section	.AMDGPU.csdata,"",@progbits
; Kernel info:
; codeLenInByte = 972
; NumSgprs: 16
; NumVgprs: 18
; NumAgprs: 0
; TotalNumVgprs: 18
; ScratchSize: 0
; MemoryBound: 0
; FloatMode: 240
; IeeeMode: 1
; LDSByteSize: 16416 bytes/workgroup (compile time only)
; SGPRBlocks: 1
; VGPRBlocks: 2
; NumSGPRsForWavesPerEU: 16
; NumVGPRsForWavesPerEU: 18
; AccumOffset: 20
; Occupancy: 6
; WaveLimiterHint : 0
; COMPUTE_PGM_RSRC2:SCRATCH_EN: 0
; COMPUTE_PGM_RSRC2:USER_SGPR: 6
; COMPUTE_PGM_RSRC2:TRAP_HANDLER: 0
; COMPUTE_PGM_RSRC2:TGID_X_EN: 1
; COMPUTE_PGM_RSRC2:TGID_Y_EN: 0
; COMPUTE_PGM_RSRC2:TGID_Z_EN: 0
; COMPUTE_PGM_RSRC2:TIDIG_COMP_CNT: 0
; COMPUTE_PGM_RSRC3_GFX90A:ACCUM_OFFSET: 4
; COMPUTE_PGM_RSRC3_GFX90A:TG_SPLIT: 0
	.section	.text._Z11rank_kernelILj256ELj1ELj4ELb0EL18RadixRankAlgorithm1EfEvPKT4_Pijj,"axG",@progbits,_Z11rank_kernelILj256ELj1ELj4ELb0EL18RadixRankAlgorithm1EfEvPKT4_Pijj,comdat
	.protected	_Z11rank_kernelILj256ELj1ELj4ELb0EL18RadixRankAlgorithm1EfEvPKT4_Pijj ; -- Begin function _Z11rank_kernelILj256ELj1ELj4ELb0EL18RadixRankAlgorithm1EfEvPKT4_Pijj
	.globl	_Z11rank_kernelILj256ELj1ELj4ELb0EL18RadixRankAlgorithm1EfEvPKT4_Pijj
	.p2align	8
	.type	_Z11rank_kernelILj256ELj1ELj4ELb0EL18RadixRankAlgorithm1EfEvPKT4_Pijj,@function
_Z11rank_kernelILj256ELj1ELj4ELb0EL18RadixRankAlgorithm1EfEvPKT4_Pijj: ; @_Z11rank_kernelILj256ELj1ELj4ELb0EL18RadixRankAlgorithm1EfEvPKT4_Pijj
; %bb.0:
	s_load_dwordx4 s[0:3], s[4:5], 0x0
	s_lshl_b32 s8, s6, 8
	s_mov_b32 s9, 0
	s_lshl_b64 s[6:7], s[8:9], 2
	v_lshlrev_b32_e32 v1, 2, v0
	s_waitcnt lgkmcnt(0)
	s_add_u32 s0, s0, s6
	s_addc_u32 s1, s1, s7
	global_load_dword v4, v1, s[0:1]
	v_or_b32_e32 v1, 0x100, v0
	v_mov_b32_e32 v5, 0
	s_mov_b64 s[0:1], 0
	v_pk_mov_b32 v[2:3], v[0:1], v[0:1] op_sel:[0,1]
	s_branch .LBB46_2
.LBB46_1:                               ;   in Loop: Header=BB46_2 Depth=1
	s_or_b64 exec, exec, s[12:13]
	s_add_i32 s9, s9, 2
	v_cmp_eq_u32_e64 s[10:11], 8, s9
	v_add_u32_e32 v3, 0x200, v3
	s_or_b64 s[0:1], s[10:11], s[0:1]
	v_add_u32_e32 v2, 0x200, v2
	s_andn2_b64 exec, exec, s[0:1]
	s_cbranch_execz .LBB46_6
.LBB46_2:                               ; =>This Inner Loop Header: Depth=1
	s_or_b32 s8, s9, 1
	v_cmp_le_u32_e64 s[10:11], s8, 7
	v_cmp_le_u32_e64 s[14:15], s9, 7
	s_and_saveexec_b64 s[12:13], s[14:15]
	s_cbranch_execz .LBB46_4
; %bb.3:                                ;   in Loop: Header=BB46_2 Depth=1
	v_lshlrev_b32_e32 v1, 2, v2
	ds_write_b32 v1, v5
.LBB46_4:                               ;   in Loop: Header=BB46_2 Depth=1
	s_or_b64 exec, exec, s[12:13]
	s_and_saveexec_b64 s[12:13], s[10:11]
	s_cbranch_execz .LBB46_1
; %bb.5:                                ;   in Loop: Header=BB46_2 Depth=1
	v_lshlrev_b32_e32 v1, 2, v3
	ds_write_b32 v1, v5
	s_branch .LBB46_1
.LBB46_6:
	s_or_b64 exec, exec, s[0:1]
	s_load_dwordx2 s[0:1], s[4:5], 0x10
	v_bfrev_b32_e32 v1, 1
	s_waitcnt vmcnt(0)
	v_cmp_lt_i32_e32 vcc, -1, v4
	v_cndmask_b32_e32 v2, -1, v1, vcc
	v_xor_b32_e32 v2, v2, v4
	s_brev_b32 s4, -2
	s_waitcnt lgkmcnt(0)
	s_and_b32 s1, s1, 31
	s_and_b32 s0, s0, 31
	v_cmp_ne_u32_e32 vcc, s4, v2
	s_add_i32 s0, s0, s1
	v_cndmask_b32_e32 v1, v1, v2, vcc
	s_sub_i32 s0, 32, s0
	v_lshlrev_b32_e32 v1, s0, v1
	s_sub_i32 s0, 32, s1
	s_cmp_lg_u32 s1, 0
	v_lshrrev_b32_e32 v1, s0, v1
	s_cselect_b64 vcc, -1, 0
	v_cndmask_b32_e32 v1, 0, v1, vcc
	v_lshrrev_b32_e32 v2, 3, v1
	v_lshlrev_b32_e32 v1, 8, v1
	s_movk_i32 s0, 0x700
	v_and_or_b32 v1, v1, s0, v0
	v_lshlrev_b32_e32 v1, 1, v1
	v_add_lshl_u32 v1, v1, v2, 1
	ds_read_u16 v10, v1
	v_lshlrev_b32_e32 v11, 5, v0
	s_waitcnt lgkmcnt(0)
	v_add_u16_e32 v2, 1, v10
	ds_write_b16 v1, v2
	s_waitcnt lgkmcnt(0)
	s_barrier
	ds_read2_b32 v[8:9], v11 offset1:1
	ds_read2_b32 v[6:7], v11 offset0:2 offset1:3
	ds_read2_b32 v[2:3], v11 offset0:4 offset1:5
	ds_read2_b32 v[4:5], v11 offset0:6 offset1:7
	s_waitcnt lgkmcnt(3)
	v_add_u32_e32 v12, v9, v8
	s_waitcnt lgkmcnt(2)
	v_add3_u32 v12, v12, v6, v7
	s_waitcnt lgkmcnt(1)
	v_add3_u32 v12, v12, v2, v3
	;; [unrolled: 2-line block ×3, first 2 shown]
	v_mbcnt_lo_u32_b32 v5, -1, 0
	v_mbcnt_hi_u32_b32 v5, -1, v5
	v_and_b32_e32 v13, 15, v5
	v_mov_b32_dpp v14, v12 row_shr:1 row_mask:0xf bank_mask:0xf
	v_cmp_ne_u32_e32 vcc, 0, v13
	v_cndmask_b32_e32 v14, 0, v14, vcc
	v_add_u32_e32 v12, v14, v12
	v_cmp_lt_u32_e32 vcc, 1, v13
	s_nop 0
	v_mov_b32_dpp v14, v12 row_shr:2 row_mask:0xf bank_mask:0xf
	v_cndmask_b32_e32 v14, 0, v14, vcc
	v_add_u32_e32 v12, v12, v14
	v_cmp_lt_u32_e32 vcc, 3, v13
	s_nop 0
	v_mov_b32_dpp v14, v12 row_shr:4 row_mask:0xf bank_mask:0xf
	;; [unrolled: 5-line block ×3, first 2 shown]
	v_cndmask_b32_e32 v13, 0, v14, vcc
	v_add_u32_e32 v12, v12, v13
	v_bfe_i32 v14, v5, 4, 1
	v_cmp_lt_u32_e32 vcc, 31, v5
	v_mov_b32_dpp v13, v12 row_bcast:15 row_mask:0xf bank_mask:0xf
	v_and_b32_e32 v13, v14, v13
	v_add_u32_e32 v12, v12, v13
	v_or_b32_e32 v14, 63, v0
	s_nop 0
	v_mov_b32_dpp v13, v12 row_bcast:31 row_mask:0xf bank_mask:0xf
	v_cndmask_b32_e32 v13, 0, v13, vcc
	v_add_u32_e32 v13, v12, v13
	v_lshrrev_b32_e32 v12, 6, v0
	v_cmp_eq_u32_e32 vcc, v14, v0
	v_lshlrev_b32_e32 v14, 2, v12
	s_and_saveexec_b64 s[0:1], vcc
	s_cbranch_execz .LBB46_8
; %bb.7:
	ds_write_b32 v14, v13 offset:8192
.LBB46_8:
	s_or_b64 exec, exec, s[0:1]
	v_cmp_gt_u32_e32 vcc, 4, v0
	v_lshlrev_b32_e32 v12, 2, v0
	s_waitcnt lgkmcnt(0)
	s_barrier
	s_and_saveexec_b64 s[0:1], vcc
	s_cbranch_execz .LBB46_10
; %bb.9:
	ds_read_b32 v15, v12 offset:8192
	v_and_b32_e32 v16, 3, v5
	v_cmp_ne_u32_e32 vcc, 0, v16
	s_waitcnt lgkmcnt(0)
	v_mov_b32_dpp v17, v15 row_shr:1 row_mask:0xf bank_mask:0xf
	v_cndmask_b32_e32 v17, 0, v17, vcc
	v_add_u32_e32 v15, v17, v15
	v_cmp_lt_u32_e32 vcc, 1, v16
	s_nop 0
	v_mov_b32_dpp v17, v15 row_shr:2 row_mask:0xf bank_mask:0xf
	v_cndmask_b32_e32 v16, 0, v17, vcc
	v_add_u32_e32 v15, v15, v16
	ds_write_b32 v12, v15 offset:8192
.LBB46_10:
	s_or_b64 exec, exec, s[0:1]
	v_cmp_lt_u32_e32 vcc, 63, v0
	v_mov_b32_e32 v0, 0
	v_mov_b32_e32 v15, 0
	s_waitcnt lgkmcnt(0)
	s_barrier
	s_and_saveexec_b64 s[0:1], vcc
	s_cbranch_execz .LBB46_12
; %bb.11:
	ds_read_b32 v15, v14 offset:8188
.LBB46_12:
	s_or_b64 exec, exec, s[0:1]
	v_add_u32_e32 v14, -1, v5
	v_and_b32_e32 v16, 64, v5
	v_cmp_lt_i32_e32 vcc, v14, v16
	v_cndmask_b32_e32 v14, v14, v5, vcc
	s_waitcnt lgkmcnt(0)
	v_add_u32_e32 v13, v15, v13
	v_lshlrev_b32_e32 v14, 2, v14
	ds_bpermute_b32 v13, v14, v13
	ds_read_b32 v0, v0 offset:8204
	v_cmp_eq_u32_e32 vcc, 0, v5
	s_add_u32 s0, s2, s6
	s_addc_u32 s1, s3, s7
	s_waitcnt lgkmcnt(1)
	v_cndmask_b32_e32 v5, v13, v15, vcc
	s_waitcnt lgkmcnt(0)
	v_lshl_add_u32 v0, v0, 16, v5
	v_add_u32_e32 v5, v0, v8
	v_add_u32_e32 v8, v5, v9
	;; [unrolled: 1-line block ×7, first 2 shown]
	ds_write2_b32 v11, v0, v5 offset1:1
	ds_write2_b32 v11, v8, v6 offset0:2 offset1:3
	ds_write2_b32 v11, v7, v2 offset0:4 offset1:5
	;; [unrolled: 1-line block ×3, first 2 shown]
	s_waitcnt lgkmcnt(0)
	s_barrier
	ds_read_u16 v0, v1
	s_waitcnt lgkmcnt(0)
	v_add_u32_sdwa v0, v0, v10 dst_sel:DWORD dst_unused:UNUSED_PAD src0_sel:DWORD src1_sel:WORD_0
	global_store_dword v12, v0, s[0:1]
	s_endpgm
	.section	.rodata,"a",@progbits
	.p2align	6, 0x0
	.amdhsa_kernel _Z11rank_kernelILj256ELj1ELj4ELb0EL18RadixRankAlgorithm1EfEvPKT4_Pijj
		.amdhsa_group_segment_fixed_size 8208
		.amdhsa_private_segment_fixed_size 0
		.amdhsa_kernarg_size 24
		.amdhsa_user_sgpr_count 6
		.amdhsa_user_sgpr_private_segment_buffer 1
		.amdhsa_user_sgpr_dispatch_ptr 0
		.amdhsa_user_sgpr_queue_ptr 0
		.amdhsa_user_sgpr_kernarg_segment_ptr 1
		.amdhsa_user_sgpr_dispatch_id 0
		.amdhsa_user_sgpr_flat_scratch_init 0
		.amdhsa_user_sgpr_kernarg_preload_length 0
		.amdhsa_user_sgpr_kernarg_preload_offset 0
		.amdhsa_user_sgpr_private_segment_size 0
		.amdhsa_uses_dynamic_stack 0
		.amdhsa_system_sgpr_private_segment_wavefront_offset 0
		.amdhsa_system_sgpr_workgroup_id_x 1
		.amdhsa_system_sgpr_workgroup_id_y 0
		.amdhsa_system_sgpr_workgroup_id_z 0
		.amdhsa_system_sgpr_workgroup_info 0
		.amdhsa_system_vgpr_workitem_id 0
		.amdhsa_next_free_vgpr 18
		.amdhsa_next_free_sgpr 16
		.amdhsa_accum_offset 20
		.amdhsa_reserve_vcc 1
		.amdhsa_reserve_flat_scratch 0
		.amdhsa_float_round_mode_32 0
		.amdhsa_float_round_mode_16_64 0
		.amdhsa_float_denorm_mode_32 3
		.amdhsa_float_denorm_mode_16_64 3
		.amdhsa_dx10_clamp 1
		.amdhsa_ieee_mode 1
		.amdhsa_fp16_overflow 0
		.amdhsa_tg_split 0
		.amdhsa_exception_fp_ieee_invalid_op 0
		.amdhsa_exception_fp_denorm_src 0
		.amdhsa_exception_fp_ieee_div_zero 0
		.amdhsa_exception_fp_ieee_overflow 0
		.amdhsa_exception_fp_ieee_underflow 0
		.amdhsa_exception_fp_ieee_inexact 0
		.amdhsa_exception_int_div_zero 0
	.end_amdhsa_kernel
	.section	.text._Z11rank_kernelILj256ELj1ELj4ELb0EL18RadixRankAlgorithm1EfEvPKT4_Pijj,"axG",@progbits,_Z11rank_kernelILj256ELj1ELj4ELb0EL18RadixRankAlgorithm1EfEvPKT4_Pijj,comdat
.Lfunc_end46:
	.size	_Z11rank_kernelILj256ELj1ELj4ELb0EL18RadixRankAlgorithm1EfEvPKT4_Pijj, .Lfunc_end46-_Z11rank_kernelILj256ELj1ELj4ELb0EL18RadixRankAlgorithm1EfEvPKT4_Pijj
                                        ; -- End function
	.section	.AMDGPU.csdata,"",@progbits
; Kernel info:
; codeLenInByte = 924
; NumSgprs: 20
; NumVgprs: 18
; NumAgprs: 0
; TotalNumVgprs: 18
; ScratchSize: 0
; MemoryBound: 0
; FloatMode: 240
; IeeeMode: 1
; LDSByteSize: 8208 bytes/workgroup (compile time only)
; SGPRBlocks: 2
; VGPRBlocks: 2
; NumSGPRsForWavesPerEU: 20
; NumVGPRsForWavesPerEU: 18
; AccumOffset: 20
; Occupancy: 7
; WaveLimiterHint : 0
; COMPUTE_PGM_RSRC2:SCRATCH_EN: 0
; COMPUTE_PGM_RSRC2:USER_SGPR: 6
; COMPUTE_PGM_RSRC2:TRAP_HANDLER: 0
; COMPUTE_PGM_RSRC2:TGID_X_EN: 1
; COMPUTE_PGM_RSRC2:TGID_Y_EN: 0
; COMPUTE_PGM_RSRC2:TGID_Z_EN: 0
; COMPUTE_PGM_RSRC2:TIDIG_COMP_CNT: 0
; COMPUTE_PGM_RSRC3_GFX90A:ACCUM_OFFSET: 4
; COMPUTE_PGM_RSRC3_GFX90A:TG_SPLIT: 0
	.section	.text._Z11rank_kernelILj128ELj1ELj4ELb0EL18RadixRankAlgorithm1E12hip_bfloat16EvPKT4_Pijj,"axG",@progbits,_Z11rank_kernelILj128ELj1ELj4ELb0EL18RadixRankAlgorithm1E12hip_bfloat16EvPKT4_Pijj,comdat
	.protected	_Z11rank_kernelILj128ELj1ELj4ELb0EL18RadixRankAlgorithm1E12hip_bfloat16EvPKT4_Pijj ; -- Begin function _Z11rank_kernelILj128ELj1ELj4ELb0EL18RadixRankAlgorithm1E12hip_bfloat16EvPKT4_Pijj
	.globl	_Z11rank_kernelILj128ELj1ELj4ELb0EL18RadixRankAlgorithm1E12hip_bfloat16EvPKT4_Pijj
	.p2align	8
	.type	_Z11rank_kernelILj128ELj1ELj4ELb0EL18RadixRankAlgorithm1E12hip_bfloat16EvPKT4_Pijj,@function
_Z11rank_kernelILj128ELj1ELj4ELb0EL18RadixRankAlgorithm1E12hip_bfloat16EvPKT4_Pijj: ; @_Z11rank_kernelILj128ELj1ELj4ELb0EL18RadixRankAlgorithm1E12hip_bfloat16EvPKT4_Pijj
; %bb.0:
	s_load_dwordx4 s[0:3], s[4:5], 0x0
	s_lshl_b32 s6, s6, 7
	s_mov_b32 s7, 0
	s_lshl_b64 s[8:9], s[6:7], 1
	v_lshlrev_b32_e32 v1, 1, v0
	s_waitcnt lgkmcnt(0)
	s_add_u32 s0, s0, s8
	s_addc_u32 s1, s1, s9
	global_load_ushort v4, v1, s[0:1]
	v_or_b32_e32 v1, 0x80, v0
	v_mov_b32_e32 v5, 0
	s_mov_b64 s[0:1], 0
	s_mov_b32 s12, s7
	v_pk_mov_b32 v[2:3], v[0:1], v[0:1] op_sel:[0,1]
	s_branch .LBB47_2
.LBB47_1:                               ;   in Loop: Header=BB47_2 Depth=1
	s_or_b64 exec, exec, s[10:11]
	s_add_i32 s12, s12, 2
	v_cmp_eq_u32_e64 s[8:9], 8, s12
	v_add_u32_e32 v3, 0x100, v3
	s_or_b64 s[0:1], s[8:9], s[0:1]
	v_add_u32_e32 v2, 0x100, v2
	s_andn2_b64 exec, exec, s[0:1]
	s_cbranch_execz .LBB47_6
.LBB47_2:                               ; =>This Inner Loop Header: Depth=1
	s_or_b32 s8, s12, 1
	v_cmp_le_u32_e64 s[8:9], s8, 7
	v_cmp_le_u32_e64 s[14:15], s12, 7
	s_and_saveexec_b64 s[10:11], s[14:15]
	s_cbranch_execz .LBB47_4
; %bb.3:                                ;   in Loop: Header=BB47_2 Depth=1
	v_lshlrev_b32_e32 v1, 2, v2
	ds_write_b32 v1, v5
.LBB47_4:                               ;   in Loop: Header=BB47_2 Depth=1
	s_or_b64 exec, exec, s[10:11]
	s_and_saveexec_b64 s[10:11], s[8:9]
	s_cbranch_execz .LBB47_1
; %bb.5:                                ;   in Loop: Header=BB47_2 Depth=1
	v_lshlrev_b32_e32 v1, 2, v3
	ds_write_b32 v1, v5
	s_branch .LBB47_1
.LBB47_6:
	s_or_b64 exec, exec, s[0:1]
	s_load_dwordx2 s[0:1], s[4:5], 0x10
	v_mov_b32_e32 v1, 0xffff8000
	s_waitcnt vmcnt(0)
	v_cmp_lt_i16_e32 vcc, -1, v4
	v_cndmask_b32_e32 v2, -1, v1, vcc
	v_xor_b32_e32 v2, v2, v4
	s_movk_i32 s4, 0x7fff
	s_waitcnt lgkmcnt(0)
	s_and_b32 s1, s1, 31
	s_and_b32 s0, s0, 31
	v_cmp_ne_u16_e32 vcc, s4, v2
	s_add_i32 s0, s0, s1
	v_cndmask_b32_e32 v1, v1, v2, vcc
	s_sub_i32 s0, 32, s0
	v_lshlrev_b32_sdwa v1, s0, v1 dst_sel:DWORD dst_unused:UNUSED_PAD src0_sel:DWORD src1_sel:WORD_0
	s_sub_i32 s0, 32, s1
	s_cmp_lg_u32 s1, 0
	v_bfe_u32 v1, v1, s0, 16
	s_cselect_b64 vcc, -1, 0
	v_cndmask_b32_e32 v1, 0, v1, vcc
	v_lshrrev_b32_e32 v2, 3, v1
	v_lshlrev_b32_e32 v1, 7, v1
	s_movk_i32 s0, 0x380
	v_and_or_b32 v1, v1, s0, v0
	v_lshlrev_b32_e32 v1, 1, v1
	v_add_lshl_u32 v1, v1, v2, 1
	ds_read_u16 v10, v1
	v_lshlrev_b32_e32 v11, 5, v0
	s_waitcnt lgkmcnt(0)
	v_add_u16_e32 v2, 1, v10
	ds_write_b16 v1, v2
	s_waitcnt lgkmcnt(0)
	s_barrier
	ds_read2_b32 v[8:9], v11 offset1:1
	ds_read2_b32 v[6:7], v11 offset0:2 offset1:3
	ds_read2_b32 v[2:3], v11 offset0:4 offset1:5
	ds_read2_b32 v[4:5], v11 offset0:6 offset1:7
	s_waitcnt lgkmcnt(3)
	v_add_u32_e32 v12, v9, v8
	s_waitcnt lgkmcnt(2)
	v_add3_u32 v12, v12, v6, v7
	s_waitcnt lgkmcnt(1)
	v_add3_u32 v12, v12, v2, v3
	;; [unrolled: 2-line block ×3, first 2 shown]
	v_mbcnt_lo_u32_b32 v5, -1, 0
	v_mbcnt_hi_u32_b32 v5, -1, v5
	v_and_b32_e32 v13, 15, v5
	v_mov_b32_dpp v14, v12 row_shr:1 row_mask:0xf bank_mask:0xf
	v_cmp_ne_u32_e32 vcc, 0, v13
	v_cndmask_b32_e32 v14, 0, v14, vcc
	v_add_u32_e32 v12, v14, v12
	v_cmp_lt_u32_e32 vcc, 1, v13
	s_nop 0
	v_mov_b32_dpp v14, v12 row_shr:2 row_mask:0xf bank_mask:0xf
	v_cndmask_b32_e32 v14, 0, v14, vcc
	v_add_u32_e32 v12, v12, v14
	v_cmp_lt_u32_e32 vcc, 3, v13
	s_nop 0
	v_mov_b32_dpp v14, v12 row_shr:4 row_mask:0xf bank_mask:0xf
	;; [unrolled: 5-line block ×3, first 2 shown]
	v_cndmask_b32_e32 v13, 0, v14, vcc
	v_add_u32_e32 v12, v12, v13
	v_bfe_i32 v14, v5, 4, 1
	v_cmp_lt_u32_e32 vcc, 31, v5
	v_mov_b32_dpp v13, v12 row_bcast:15 row_mask:0xf bank_mask:0xf
	v_and_b32_e32 v13, v14, v13
	v_add_u32_e32 v12, v12, v13
	v_or_b32_e32 v14, 63, v0
	s_nop 0
	v_mov_b32_dpp v13, v12 row_bcast:31 row_mask:0xf bank_mask:0xf
	v_cndmask_b32_e32 v13, 0, v13, vcc
	v_add_u32_e32 v13, v12, v13
	v_lshrrev_b32_e32 v12, 6, v0
	v_cmp_eq_u32_e32 vcc, v14, v0
	v_lshlrev_b32_e32 v14, 2, v12
	s_and_saveexec_b64 s[0:1], vcc
	s_cbranch_execz .LBB47_8
; %bb.7:
	ds_write_b32 v14, v13 offset:4096
.LBB47_8:
	s_or_b64 exec, exec, s[0:1]
	v_cmp_gt_u32_e32 vcc, 2, v0
	v_lshlrev_b32_e32 v12, 2, v0
	s_waitcnt lgkmcnt(0)
	s_barrier
	s_and_saveexec_b64 s[0:1], vcc
	s_cbranch_execz .LBB47_10
; %bb.9:
	ds_read_b32 v15, v12 offset:4096
	v_bfe_i32 v16, v5, 0, 1
	s_waitcnt lgkmcnt(0)
	v_mov_b32_dpp v17, v15 row_shr:1 row_mask:0xf bank_mask:0xf
	v_and_b32_e32 v16, v16, v17
	v_add_u32_e32 v15, v16, v15
	ds_write_b32 v12, v15 offset:4096
.LBB47_10:
	s_or_b64 exec, exec, s[0:1]
	v_cmp_lt_u32_e32 vcc, 63, v0
	v_mov_b32_e32 v0, 0
	v_mov_b32_e32 v15, 0
	s_waitcnt lgkmcnt(0)
	s_barrier
	s_and_saveexec_b64 s[0:1], vcc
	s_cbranch_execz .LBB47_12
; %bb.11:
	ds_read_b32 v15, v14 offset:4092
.LBB47_12:
	s_or_b64 exec, exec, s[0:1]
	v_add_u32_e32 v14, -1, v5
	v_and_b32_e32 v16, 64, v5
	v_cmp_lt_i32_e32 vcc, v14, v16
	v_cndmask_b32_e32 v14, v14, v5, vcc
	s_waitcnt lgkmcnt(0)
	v_add_u32_e32 v13, v15, v13
	v_lshlrev_b32_e32 v14, 2, v14
	ds_bpermute_b32 v13, v14, v13
	ds_read_b32 v0, v0 offset:4100
	v_cmp_eq_u32_e32 vcc, 0, v5
	s_lshl_b64 s[0:1], s[6:7], 2
	s_add_u32 s0, s2, s0
	s_waitcnt lgkmcnt(1)
	v_cndmask_b32_e32 v5, v13, v15, vcc
	s_waitcnt lgkmcnt(0)
	v_lshl_add_u32 v0, v0, 16, v5
	v_add_u32_e32 v5, v0, v8
	v_add_u32_e32 v8, v5, v9
	;; [unrolled: 1-line block ×7, first 2 shown]
	ds_write2_b32 v11, v0, v5 offset1:1
	ds_write2_b32 v11, v8, v6 offset0:2 offset1:3
	ds_write2_b32 v11, v7, v2 offset0:4 offset1:5
	;; [unrolled: 1-line block ×3, first 2 shown]
	s_waitcnt lgkmcnt(0)
	s_barrier
	ds_read_u16 v0, v1
	s_addc_u32 s1, s3, s1
	s_waitcnt lgkmcnt(0)
	v_add_u32_sdwa v0, v0, v10 dst_sel:DWORD dst_unused:UNUSED_PAD src0_sel:DWORD src1_sel:WORD_0
	global_store_dword v12, v0, s[0:1]
	s_endpgm
	.section	.rodata,"a",@progbits
	.p2align	6, 0x0
	.amdhsa_kernel _Z11rank_kernelILj128ELj1ELj4ELb0EL18RadixRankAlgorithm1E12hip_bfloat16EvPKT4_Pijj
		.amdhsa_group_segment_fixed_size 4112
		.amdhsa_private_segment_fixed_size 0
		.amdhsa_kernarg_size 24
		.amdhsa_user_sgpr_count 6
		.amdhsa_user_sgpr_private_segment_buffer 1
		.amdhsa_user_sgpr_dispatch_ptr 0
		.amdhsa_user_sgpr_queue_ptr 0
		.amdhsa_user_sgpr_kernarg_segment_ptr 1
		.amdhsa_user_sgpr_dispatch_id 0
		.amdhsa_user_sgpr_flat_scratch_init 0
		.amdhsa_user_sgpr_kernarg_preload_length 0
		.amdhsa_user_sgpr_kernarg_preload_offset 0
		.amdhsa_user_sgpr_private_segment_size 0
		.amdhsa_uses_dynamic_stack 0
		.amdhsa_system_sgpr_private_segment_wavefront_offset 0
		.amdhsa_system_sgpr_workgroup_id_x 1
		.amdhsa_system_sgpr_workgroup_id_y 0
		.amdhsa_system_sgpr_workgroup_id_z 0
		.amdhsa_system_sgpr_workgroup_info 0
		.amdhsa_system_vgpr_workitem_id 0
		.amdhsa_next_free_vgpr 18
		.amdhsa_next_free_sgpr 16
		.amdhsa_accum_offset 20
		.amdhsa_reserve_vcc 1
		.amdhsa_reserve_flat_scratch 0
		.amdhsa_float_round_mode_32 0
		.amdhsa_float_round_mode_16_64 0
		.amdhsa_float_denorm_mode_32 3
		.amdhsa_float_denorm_mode_16_64 3
		.amdhsa_dx10_clamp 1
		.amdhsa_ieee_mode 1
		.amdhsa_fp16_overflow 0
		.amdhsa_tg_split 0
		.amdhsa_exception_fp_ieee_invalid_op 0
		.amdhsa_exception_fp_denorm_src 0
		.amdhsa_exception_fp_ieee_div_zero 0
		.amdhsa_exception_fp_ieee_overflow 0
		.amdhsa_exception_fp_ieee_underflow 0
		.amdhsa_exception_fp_ieee_inexact 0
		.amdhsa_exception_int_div_zero 0
	.end_amdhsa_kernel
	.section	.text._Z11rank_kernelILj128ELj1ELj4ELb0EL18RadixRankAlgorithm1E12hip_bfloat16EvPKT4_Pijj,"axG",@progbits,_Z11rank_kernelILj128ELj1ELj4ELb0EL18RadixRankAlgorithm1E12hip_bfloat16EvPKT4_Pijj,comdat
.Lfunc_end47:
	.size	_Z11rank_kernelILj128ELj1ELj4ELb0EL18RadixRankAlgorithm1E12hip_bfloat16EvPKT4_Pijj, .Lfunc_end47-_Z11rank_kernelILj128ELj1ELj4ELb0EL18RadixRankAlgorithm1E12hip_bfloat16EvPKT4_Pijj
                                        ; -- End function
	.section	.AMDGPU.csdata,"",@progbits
; Kernel info:
; codeLenInByte = 920
; NumSgprs: 20
; NumVgprs: 18
; NumAgprs: 0
; TotalNumVgprs: 18
; ScratchSize: 0
; MemoryBound: 0
; FloatMode: 240
; IeeeMode: 1
; LDSByteSize: 4112 bytes/workgroup (compile time only)
; SGPRBlocks: 2
; VGPRBlocks: 2
; NumSGPRsForWavesPerEU: 20
; NumVGPRsForWavesPerEU: 18
; AccumOffset: 20
; Occupancy: 8
; WaveLimiterHint : 0
; COMPUTE_PGM_RSRC2:SCRATCH_EN: 0
; COMPUTE_PGM_RSRC2:USER_SGPR: 6
; COMPUTE_PGM_RSRC2:TRAP_HANDLER: 0
; COMPUTE_PGM_RSRC2:TGID_X_EN: 1
; COMPUTE_PGM_RSRC2:TGID_Y_EN: 0
; COMPUTE_PGM_RSRC2:TGID_Z_EN: 0
; COMPUTE_PGM_RSRC2:TIDIG_COMP_CNT: 0
; COMPUTE_PGM_RSRC3_GFX90A:ACCUM_OFFSET: 4
; COMPUTE_PGM_RSRC3_GFX90A:TG_SPLIT: 0
	.section	.text._Z11rank_kernelILj128ELj1ELj4ELb0EL18RadixRankAlgorithm1E6__halfEvPKT4_Pijj,"axG",@progbits,_Z11rank_kernelILj128ELj1ELj4ELb0EL18RadixRankAlgorithm1E6__halfEvPKT4_Pijj,comdat
	.protected	_Z11rank_kernelILj128ELj1ELj4ELb0EL18RadixRankAlgorithm1E6__halfEvPKT4_Pijj ; -- Begin function _Z11rank_kernelILj128ELj1ELj4ELb0EL18RadixRankAlgorithm1E6__halfEvPKT4_Pijj
	.globl	_Z11rank_kernelILj128ELj1ELj4ELb0EL18RadixRankAlgorithm1E6__halfEvPKT4_Pijj
	.p2align	8
	.type	_Z11rank_kernelILj128ELj1ELj4ELb0EL18RadixRankAlgorithm1E6__halfEvPKT4_Pijj,@function
_Z11rank_kernelILj128ELj1ELj4ELb0EL18RadixRankAlgorithm1E6__halfEvPKT4_Pijj: ; @_Z11rank_kernelILj128ELj1ELj4ELb0EL18RadixRankAlgorithm1E6__halfEvPKT4_Pijj
; %bb.0:
	s_load_dwordx4 s[0:3], s[4:5], 0x0
	s_lshl_b32 s6, s6, 7
	s_mov_b32 s7, 0
	s_lshl_b64 s[8:9], s[6:7], 1
	v_lshlrev_b32_e32 v1, 1, v0
	s_waitcnt lgkmcnt(0)
	s_add_u32 s0, s0, s8
	s_addc_u32 s1, s1, s9
	global_load_ushort v4, v1, s[0:1]
	v_or_b32_e32 v1, 0x80, v0
	v_mov_b32_e32 v5, 0
	s_mov_b64 s[0:1], 0
	s_mov_b32 s12, s7
	v_pk_mov_b32 v[2:3], v[0:1], v[0:1] op_sel:[0,1]
	s_branch .LBB48_2
.LBB48_1:                               ;   in Loop: Header=BB48_2 Depth=1
	s_or_b64 exec, exec, s[10:11]
	s_add_i32 s12, s12, 2
	v_cmp_eq_u32_e64 s[8:9], 8, s12
	v_add_u32_e32 v3, 0x100, v3
	s_or_b64 s[0:1], s[8:9], s[0:1]
	v_add_u32_e32 v2, 0x100, v2
	s_andn2_b64 exec, exec, s[0:1]
	s_cbranch_execz .LBB48_6
.LBB48_2:                               ; =>This Inner Loop Header: Depth=1
	s_or_b32 s8, s12, 1
	v_cmp_le_u32_e64 s[8:9], s8, 7
	v_cmp_le_u32_e64 s[14:15], s12, 7
	s_and_saveexec_b64 s[10:11], s[14:15]
	s_cbranch_execz .LBB48_4
; %bb.3:                                ;   in Loop: Header=BB48_2 Depth=1
	v_lshlrev_b32_e32 v1, 2, v2
	ds_write_b32 v1, v5
.LBB48_4:                               ;   in Loop: Header=BB48_2 Depth=1
	s_or_b64 exec, exec, s[10:11]
	s_and_saveexec_b64 s[10:11], s[8:9]
	s_cbranch_execz .LBB48_1
; %bb.5:                                ;   in Loop: Header=BB48_2 Depth=1
	v_lshlrev_b32_e32 v1, 2, v3
	ds_write_b32 v1, v5
	s_branch .LBB48_1
.LBB48_6:
	s_or_b64 exec, exec, s[0:1]
	s_load_dwordx2 s[0:1], s[4:5], 0x10
	v_mov_b32_e32 v1, 0xffff8000
	s_waitcnt vmcnt(0)
	v_cmp_lt_i16_e32 vcc, -1, v4
	v_cndmask_b32_e32 v2, -1, v1, vcc
	v_xor_b32_e32 v2, v2, v4
	s_movk_i32 s4, 0x7fff
	s_waitcnt lgkmcnt(0)
	s_and_b32 s1, s1, 31
	s_and_b32 s0, s0, 31
	v_cmp_ne_u16_e32 vcc, s4, v2
	s_add_i32 s0, s0, s1
	v_cndmask_b32_e32 v1, v1, v2, vcc
	s_sub_i32 s0, 32, s0
	v_lshlrev_b32_sdwa v1, s0, v1 dst_sel:DWORD dst_unused:UNUSED_PAD src0_sel:DWORD src1_sel:WORD_0
	s_sub_i32 s0, 32, s1
	s_cmp_lg_u32 s1, 0
	v_bfe_u32 v1, v1, s0, 16
	s_cselect_b64 vcc, -1, 0
	v_cndmask_b32_e32 v1, 0, v1, vcc
	v_lshrrev_b32_e32 v2, 3, v1
	v_lshlrev_b32_e32 v1, 7, v1
	s_movk_i32 s0, 0x380
	v_and_or_b32 v1, v1, s0, v0
	v_lshlrev_b32_e32 v1, 1, v1
	v_add_lshl_u32 v1, v1, v2, 1
	ds_read_u16 v10, v1
	v_lshlrev_b32_e32 v11, 5, v0
	s_waitcnt lgkmcnt(0)
	v_add_u16_e32 v2, 1, v10
	ds_write_b16 v1, v2
	s_waitcnt lgkmcnt(0)
	s_barrier
	ds_read2_b32 v[8:9], v11 offset1:1
	ds_read2_b32 v[6:7], v11 offset0:2 offset1:3
	ds_read2_b32 v[2:3], v11 offset0:4 offset1:5
	ds_read2_b32 v[4:5], v11 offset0:6 offset1:7
	s_waitcnt lgkmcnt(3)
	v_add_u32_e32 v12, v9, v8
	s_waitcnt lgkmcnt(2)
	v_add3_u32 v12, v12, v6, v7
	s_waitcnt lgkmcnt(1)
	v_add3_u32 v12, v12, v2, v3
	;; [unrolled: 2-line block ×3, first 2 shown]
	v_mbcnt_lo_u32_b32 v5, -1, 0
	v_mbcnt_hi_u32_b32 v5, -1, v5
	v_and_b32_e32 v13, 15, v5
	v_mov_b32_dpp v14, v12 row_shr:1 row_mask:0xf bank_mask:0xf
	v_cmp_ne_u32_e32 vcc, 0, v13
	v_cndmask_b32_e32 v14, 0, v14, vcc
	v_add_u32_e32 v12, v14, v12
	v_cmp_lt_u32_e32 vcc, 1, v13
	s_nop 0
	v_mov_b32_dpp v14, v12 row_shr:2 row_mask:0xf bank_mask:0xf
	v_cndmask_b32_e32 v14, 0, v14, vcc
	v_add_u32_e32 v12, v12, v14
	v_cmp_lt_u32_e32 vcc, 3, v13
	s_nop 0
	v_mov_b32_dpp v14, v12 row_shr:4 row_mask:0xf bank_mask:0xf
	;; [unrolled: 5-line block ×3, first 2 shown]
	v_cndmask_b32_e32 v13, 0, v14, vcc
	v_add_u32_e32 v12, v12, v13
	v_bfe_i32 v14, v5, 4, 1
	v_cmp_lt_u32_e32 vcc, 31, v5
	v_mov_b32_dpp v13, v12 row_bcast:15 row_mask:0xf bank_mask:0xf
	v_and_b32_e32 v13, v14, v13
	v_add_u32_e32 v12, v12, v13
	v_or_b32_e32 v14, 63, v0
	s_nop 0
	v_mov_b32_dpp v13, v12 row_bcast:31 row_mask:0xf bank_mask:0xf
	v_cndmask_b32_e32 v13, 0, v13, vcc
	v_add_u32_e32 v13, v12, v13
	v_lshrrev_b32_e32 v12, 6, v0
	v_cmp_eq_u32_e32 vcc, v14, v0
	v_lshlrev_b32_e32 v14, 2, v12
	s_and_saveexec_b64 s[0:1], vcc
	s_cbranch_execz .LBB48_8
; %bb.7:
	ds_write_b32 v14, v13 offset:4096
.LBB48_8:
	s_or_b64 exec, exec, s[0:1]
	v_cmp_gt_u32_e32 vcc, 2, v0
	v_lshlrev_b32_e32 v12, 2, v0
	s_waitcnt lgkmcnt(0)
	s_barrier
	s_and_saveexec_b64 s[0:1], vcc
	s_cbranch_execz .LBB48_10
; %bb.9:
	ds_read_b32 v15, v12 offset:4096
	v_bfe_i32 v16, v5, 0, 1
	s_waitcnt lgkmcnt(0)
	v_mov_b32_dpp v17, v15 row_shr:1 row_mask:0xf bank_mask:0xf
	v_and_b32_e32 v16, v16, v17
	v_add_u32_e32 v15, v16, v15
	ds_write_b32 v12, v15 offset:4096
.LBB48_10:
	s_or_b64 exec, exec, s[0:1]
	v_cmp_lt_u32_e32 vcc, 63, v0
	v_mov_b32_e32 v0, 0
	v_mov_b32_e32 v15, 0
	s_waitcnt lgkmcnt(0)
	s_barrier
	s_and_saveexec_b64 s[0:1], vcc
	s_cbranch_execz .LBB48_12
; %bb.11:
	ds_read_b32 v15, v14 offset:4092
.LBB48_12:
	s_or_b64 exec, exec, s[0:1]
	v_add_u32_e32 v14, -1, v5
	v_and_b32_e32 v16, 64, v5
	v_cmp_lt_i32_e32 vcc, v14, v16
	v_cndmask_b32_e32 v14, v14, v5, vcc
	s_waitcnt lgkmcnt(0)
	v_add_u32_e32 v13, v15, v13
	v_lshlrev_b32_e32 v14, 2, v14
	ds_bpermute_b32 v13, v14, v13
	ds_read_b32 v0, v0 offset:4100
	v_cmp_eq_u32_e32 vcc, 0, v5
	s_lshl_b64 s[0:1], s[6:7], 2
	s_add_u32 s0, s2, s0
	s_waitcnt lgkmcnt(1)
	v_cndmask_b32_e32 v5, v13, v15, vcc
	s_waitcnt lgkmcnt(0)
	v_lshl_add_u32 v0, v0, 16, v5
	v_add_u32_e32 v5, v0, v8
	v_add_u32_e32 v8, v5, v9
	;; [unrolled: 1-line block ×7, first 2 shown]
	ds_write2_b32 v11, v0, v5 offset1:1
	ds_write2_b32 v11, v8, v6 offset0:2 offset1:3
	ds_write2_b32 v11, v7, v2 offset0:4 offset1:5
	;; [unrolled: 1-line block ×3, first 2 shown]
	s_waitcnt lgkmcnt(0)
	s_barrier
	ds_read_u16 v0, v1
	s_addc_u32 s1, s3, s1
	s_waitcnt lgkmcnt(0)
	v_add_u32_sdwa v0, v0, v10 dst_sel:DWORD dst_unused:UNUSED_PAD src0_sel:DWORD src1_sel:WORD_0
	global_store_dword v12, v0, s[0:1]
	s_endpgm
	.section	.rodata,"a",@progbits
	.p2align	6, 0x0
	.amdhsa_kernel _Z11rank_kernelILj128ELj1ELj4ELb0EL18RadixRankAlgorithm1E6__halfEvPKT4_Pijj
		.amdhsa_group_segment_fixed_size 4112
		.amdhsa_private_segment_fixed_size 0
		.amdhsa_kernarg_size 24
		.amdhsa_user_sgpr_count 6
		.amdhsa_user_sgpr_private_segment_buffer 1
		.amdhsa_user_sgpr_dispatch_ptr 0
		.amdhsa_user_sgpr_queue_ptr 0
		.amdhsa_user_sgpr_kernarg_segment_ptr 1
		.amdhsa_user_sgpr_dispatch_id 0
		.amdhsa_user_sgpr_flat_scratch_init 0
		.amdhsa_user_sgpr_kernarg_preload_length 0
		.amdhsa_user_sgpr_kernarg_preload_offset 0
		.amdhsa_user_sgpr_private_segment_size 0
		.amdhsa_uses_dynamic_stack 0
		.amdhsa_system_sgpr_private_segment_wavefront_offset 0
		.amdhsa_system_sgpr_workgroup_id_x 1
		.amdhsa_system_sgpr_workgroup_id_y 0
		.amdhsa_system_sgpr_workgroup_id_z 0
		.amdhsa_system_sgpr_workgroup_info 0
		.amdhsa_system_vgpr_workitem_id 0
		.amdhsa_next_free_vgpr 18
		.amdhsa_next_free_sgpr 16
		.amdhsa_accum_offset 20
		.amdhsa_reserve_vcc 1
		.amdhsa_reserve_flat_scratch 0
		.amdhsa_float_round_mode_32 0
		.amdhsa_float_round_mode_16_64 0
		.amdhsa_float_denorm_mode_32 3
		.amdhsa_float_denorm_mode_16_64 3
		.amdhsa_dx10_clamp 1
		.amdhsa_ieee_mode 1
		.amdhsa_fp16_overflow 0
		.amdhsa_tg_split 0
		.amdhsa_exception_fp_ieee_invalid_op 0
		.amdhsa_exception_fp_denorm_src 0
		.amdhsa_exception_fp_ieee_div_zero 0
		.amdhsa_exception_fp_ieee_overflow 0
		.amdhsa_exception_fp_ieee_underflow 0
		.amdhsa_exception_fp_ieee_inexact 0
		.amdhsa_exception_int_div_zero 0
	.end_amdhsa_kernel
	.section	.text._Z11rank_kernelILj128ELj1ELj4ELb0EL18RadixRankAlgorithm1E6__halfEvPKT4_Pijj,"axG",@progbits,_Z11rank_kernelILj128ELj1ELj4ELb0EL18RadixRankAlgorithm1E6__halfEvPKT4_Pijj,comdat
.Lfunc_end48:
	.size	_Z11rank_kernelILj128ELj1ELj4ELb0EL18RadixRankAlgorithm1E6__halfEvPKT4_Pijj, .Lfunc_end48-_Z11rank_kernelILj128ELj1ELj4ELb0EL18RadixRankAlgorithm1E6__halfEvPKT4_Pijj
                                        ; -- End function
	.section	.AMDGPU.csdata,"",@progbits
; Kernel info:
; codeLenInByte = 920
; NumSgprs: 20
; NumVgprs: 18
; NumAgprs: 0
; TotalNumVgprs: 18
; ScratchSize: 0
; MemoryBound: 0
; FloatMode: 240
; IeeeMode: 1
; LDSByteSize: 4112 bytes/workgroup (compile time only)
; SGPRBlocks: 2
; VGPRBlocks: 2
; NumSGPRsForWavesPerEU: 20
; NumVGPRsForWavesPerEU: 18
; AccumOffset: 20
; Occupancy: 8
; WaveLimiterHint : 0
; COMPUTE_PGM_RSRC2:SCRATCH_EN: 0
; COMPUTE_PGM_RSRC2:USER_SGPR: 6
; COMPUTE_PGM_RSRC2:TRAP_HANDLER: 0
; COMPUTE_PGM_RSRC2:TGID_X_EN: 1
; COMPUTE_PGM_RSRC2:TGID_Y_EN: 0
; COMPUTE_PGM_RSRC2:TGID_Z_EN: 0
; COMPUTE_PGM_RSRC2:TIDIG_COMP_CNT: 0
; COMPUTE_PGM_RSRC3_GFX90A:ACCUM_OFFSET: 4
; COMPUTE_PGM_RSRC3_GFX90A:TG_SPLIT: 0
	.section	.text._Z11rank_kernelILj64ELj1ELj4ELb0EL18RadixRankAlgorithm1EjEvPKT4_Pijj,"axG",@progbits,_Z11rank_kernelILj64ELj1ELj4ELb0EL18RadixRankAlgorithm1EjEvPKT4_Pijj,comdat
	.protected	_Z11rank_kernelILj64ELj1ELj4ELb0EL18RadixRankAlgorithm1EjEvPKT4_Pijj ; -- Begin function _Z11rank_kernelILj64ELj1ELj4ELb0EL18RadixRankAlgorithm1EjEvPKT4_Pijj
	.globl	_Z11rank_kernelILj64ELj1ELj4ELb0EL18RadixRankAlgorithm1EjEvPKT4_Pijj
	.p2align	8
	.type	_Z11rank_kernelILj64ELj1ELj4ELb0EL18RadixRankAlgorithm1EjEvPKT4_Pijj,@function
_Z11rank_kernelILj64ELj1ELj4ELb0EL18RadixRankAlgorithm1EjEvPKT4_Pijj: ; @_Z11rank_kernelILj64ELj1ELj4ELb0EL18RadixRankAlgorithm1EjEvPKT4_Pijj
; %bb.0:
	s_load_dwordx4 s[0:3], s[4:5], 0x0
	s_lshl_b32 s8, s6, 6
	s_mov_b32 s9, 0
	s_lshl_b64 s[6:7], s[8:9], 2
	v_lshlrev_b32_e32 v10, 2, v0
	s_waitcnt lgkmcnt(0)
	s_add_u32 s0, s0, s6
	s_addc_u32 s1, s1, s7
	global_load_dword v4, v10, s[0:1]
	s_movk_i32 s0, 0x200
	v_cmp_gt_u32_e32 vcc, s0, v0
	s_and_saveexec_b64 s[0:1], vcc
	s_cbranch_execz .LBB49_7
; %bb.1:
	v_or_b32_e32 v1, 64, v0
	s_mov_b64 s[10:11], 0
	v_mov_b32_e32 v5, 0
	v_pk_mov_b32 v[2:3], v[0:1], v[0:1] op_sel:[0,1]
	s_branch .LBB49_3
.LBB49_2:                               ;   in Loop: Header=BB49_3 Depth=1
	s_or_b64 exec, exec, s[14:15]
	s_add_i32 s9, s9, 2
	v_cmp_eq_u32_e64 s[12:13], 8, s9
	v_add_u32_e32 v3, 0x80, v3
	s_or_b64 s[10:11], s[12:13], s[10:11]
	v_add_u32_e32 v2, 0x80, v2
	s_andn2_b64 exec, exec, s[10:11]
	s_cbranch_execz .LBB49_7
.LBB49_3:                               ; =>This Inner Loop Header: Depth=1
	s_or_b32 s8, s9, 1
	v_cmp_le_u32_e64 s[12:13], s8, 7
	v_cmp_le_u32_e64 s[16:17], s9, 7
	s_and_saveexec_b64 s[14:15], s[16:17]
	s_cbranch_execz .LBB49_5
; %bb.4:                                ;   in Loop: Header=BB49_3 Depth=1
	v_lshlrev_b32_e32 v1, 2, v2
	ds_write_b32 v1, v5
.LBB49_5:                               ;   in Loop: Header=BB49_3 Depth=1
	s_or_b64 exec, exec, s[14:15]
	s_and_saveexec_b64 s[14:15], s[12:13]
	s_cbranch_execz .LBB49_2
; %bb.6:                                ;   in Loop: Header=BB49_3 Depth=1
	v_lshlrev_b32_e32 v1, 2, v3
	ds_write_b32 v1, v5
	s_branch .LBB49_2
.LBB49_7:
	s_or_b64 exec, exec, s[0:1]
	s_load_dwordx2 s[0:1], s[4:5], 0x10
	v_lshlrev_b32_e32 v12, 5, v0
	s_waitcnt lgkmcnt(0)
	s_and_b32 s1, s1, 31
	s_and_b32 s0, s0, 31
	s_add_i32 s0, s0, s1
	s_sub_i32 s4, 32, s1
	s_sub_i32 s0, 32, s0
	s_waitcnt vmcnt(0)
	v_lshlrev_b32_e32 v1, s0, v4
	s_cmp_lg_u32 s1, 0
	v_lshrrev_b32_e32 v1, s4, v1
	s_cselect_b64 vcc, -1, 0
	v_cndmask_b32_e32 v1, 0, v1, vcc
	v_lshrrev_b32_e32 v2, 3, v1
	v_lshlrev_b32_e32 v1, 6, v1
	s_movk_i32 s0, 0x1c0
	v_and_or_b32 v1, v1, s0, v0
	v_lshlrev_b32_e32 v1, 1, v1
	v_add_lshl_u32 v1, v1, v2, 1
	ds_read_u16 v11, v1
	s_waitcnt lgkmcnt(0)
	v_add_u16_e32 v2, 1, v11
	ds_write_b16 v1, v2
	s_waitcnt lgkmcnt(0)
	; wave barrier
	s_waitcnt lgkmcnt(0)
	ds_read2_b32 v[8:9], v12 offset1:1
	ds_read2_b32 v[6:7], v12 offset0:2 offset1:3
	ds_read2_b32 v[2:3], v12 offset0:4 offset1:5
	;; [unrolled: 1-line block ×3, first 2 shown]
	s_waitcnt lgkmcnt(3)
	v_add_u32_e32 v13, v9, v8
	s_waitcnt lgkmcnt(2)
	v_add3_u32 v13, v13, v6, v7
	s_waitcnt lgkmcnt(1)
	v_add3_u32 v13, v13, v2, v3
	;; [unrolled: 2-line block ×3, first 2 shown]
	v_mbcnt_lo_u32_b32 v5, -1, 0
	v_mbcnt_hi_u32_b32 v5, -1, v5
	v_and_b32_e32 v14, 15, v5
	v_mov_b32_dpp v15, v13 row_shr:1 row_mask:0xf bank_mask:0xf
	v_cmp_ne_u32_e32 vcc, 0, v14
	v_cndmask_b32_e32 v15, 0, v15, vcc
	v_add_u32_e32 v13, v15, v13
	v_cmp_lt_u32_e32 vcc, 1, v14
	s_nop 0
	v_mov_b32_dpp v15, v13 row_shr:2 row_mask:0xf bank_mask:0xf
	v_cndmask_b32_e32 v15, 0, v15, vcc
	v_add_u32_e32 v13, v13, v15
	v_cmp_lt_u32_e32 vcc, 3, v14
	s_nop 0
	v_mov_b32_dpp v15, v13 row_shr:4 row_mask:0xf bank_mask:0xf
	;; [unrolled: 5-line block ×3, first 2 shown]
	v_cndmask_b32_e32 v14, 0, v15, vcc
	v_add_u32_e32 v13, v13, v14
	v_bfe_i32 v15, v5, 4, 1
	v_cmp_lt_u32_e32 vcc, 31, v5
	v_mov_b32_dpp v14, v13 row_bcast:15 row_mask:0xf bank_mask:0xf
	v_and_b32_e32 v14, v15, v14
	v_add_u32_e32 v13, v13, v14
	s_nop 1
	v_mov_b32_dpp v14, v13 row_bcast:31 row_mask:0xf bank_mask:0xf
	v_cndmask_b32_e32 v14, 0, v14, vcc
	v_add_u32_e32 v13, v13, v14
	v_cmp_eq_u32_e32 vcc, 63, v0
	s_and_saveexec_b64 s[0:1], vcc
	s_cbranch_execz .LBB49_9
; %bb.8:
	v_mov_b32_e32 v0, 0
	ds_write_b32 v0, v13 offset:2048
.LBB49_9:
	s_or_b64 exec, exec, s[0:1]
	v_add_u32_e32 v0, -1, v5
	v_and_b32_e32 v14, 64, v5
	v_cmp_lt_i32_e32 vcc, v0, v14
	v_cndmask_b32_e32 v0, v0, v5, vcc
	v_lshlrev_b32_e32 v0, 2, v0
	ds_bpermute_b32 v0, v0, v13
	v_mov_b32_e32 v13, 0
	s_waitcnt lgkmcnt(0)
	; wave barrier
	s_waitcnt lgkmcnt(0)
	ds_read_b32 v13, v13 offset:2048
	v_cmp_ne_u32_e32 vcc, 0, v5
	v_cndmask_b32_e32 v0, 0, v0, vcc
	s_add_u32 s0, s2, s6
	s_addc_u32 s1, s3, s7
	s_waitcnt lgkmcnt(0)
	v_lshl_add_u32 v0, v13, 16, v0
	v_add_u32_e32 v5, v0, v8
	v_add_u32_e32 v8, v5, v9
	;; [unrolled: 1-line block ×7, first 2 shown]
	ds_write2_b32 v12, v0, v5 offset1:1
	ds_write2_b32 v12, v8, v6 offset0:2 offset1:3
	ds_write2_b32 v12, v7, v2 offset0:4 offset1:5
	;; [unrolled: 1-line block ×3, first 2 shown]
	s_waitcnt lgkmcnt(0)
	; wave barrier
	s_waitcnt lgkmcnt(0)
	ds_read_u16 v0, v1
	s_waitcnt lgkmcnt(0)
	v_add_u32_sdwa v0, v0, v11 dst_sel:DWORD dst_unused:UNUSED_PAD src0_sel:DWORD src1_sel:WORD_0
	global_store_dword v10, v0, s[0:1]
	s_endpgm
	.section	.rodata,"a",@progbits
	.p2align	6, 0x0
	.amdhsa_kernel _Z11rank_kernelILj64ELj1ELj4ELb0EL18RadixRankAlgorithm1EjEvPKT4_Pijj
		.amdhsa_group_segment_fixed_size 2064
		.amdhsa_private_segment_fixed_size 0
		.amdhsa_kernarg_size 24
		.amdhsa_user_sgpr_count 6
		.amdhsa_user_sgpr_private_segment_buffer 1
		.amdhsa_user_sgpr_dispatch_ptr 0
		.amdhsa_user_sgpr_queue_ptr 0
		.amdhsa_user_sgpr_kernarg_segment_ptr 1
		.amdhsa_user_sgpr_dispatch_id 0
		.amdhsa_user_sgpr_flat_scratch_init 0
		.amdhsa_user_sgpr_kernarg_preload_length 0
		.amdhsa_user_sgpr_kernarg_preload_offset 0
		.amdhsa_user_sgpr_private_segment_size 0
		.amdhsa_uses_dynamic_stack 0
		.amdhsa_system_sgpr_private_segment_wavefront_offset 0
		.amdhsa_system_sgpr_workgroup_id_x 1
		.amdhsa_system_sgpr_workgroup_id_y 0
		.amdhsa_system_sgpr_workgroup_id_z 0
		.amdhsa_system_sgpr_workgroup_info 0
		.amdhsa_system_vgpr_workitem_id 0
		.amdhsa_next_free_vgpr 16
		.amdhsa_next_free_sgpr 18
		.amdhsa_accum_offset 16
		.amdhsa_reserve_vcc 1
		.amdhsa_reserve_flat_scratch 0
		.amdhsa_float_round_mode_32 0
		.amdhsa_float_round_mode_16_64 0
		.amdhsa_float_denorm_mode_32 3
		.amdhsa_float_denorm_mode_16_64 3
		.amdhsa_dx10_clamp 1
		.amdhsa_ieee_mode 1
		.amdhsa_fp16_overflow 0
		.amdhsa_tg_split 0
		.amdhsa_exception_fp_ieee_invalid_op 0
		.amdhsa_exception_fp_denorm_src 0
		.amdhsa_exception_fp_ieee_div_zero 0
		.amdhsa_exception_fp_ieee_overflow 0
		.amdhsa_exception_fp_ieee_underflow 0
		.amdhsa_exception_fp_ieee_inexact 0
		.amdhsa_exception_int_div_zero 0
	.end_amdhsa_kernel
	.section	.text._Z11rank_kernelILj64ELj1ELj4ELb0EL18RadixRankAlgorithm1EjEvPKT4_Pijj,"axG",@progbits,_Z11rank_kernelILj64ELj1ELj4ELb0EL18RadixRankAlgorithm1EjEvPKT4_Pijj,comdat
.Lfunc_end49:
	.size	_Z11rank_kernelILj64ELj1ELj4ELb0EL18RadixRankAlgorithm1EjEvPKT4_Pijj, .Lfunc_end49-_Z11rank_kernelILj64ELj1ELj4ELb0EL18RadixRankAlgorithm1EjEvPKT4_Pijj
                                        ; -- End function
	.section	.AMDGPU.csdata,"",@progbits
; Kernel info:
; codeLenInByte = 764
; NumSgprs: 22
; NumVgprs: 16
; NumAgprs: 0
; TotalNumVgprs: 16
; ScratchSize: 0
; MemoryBound: 0
; FloatMode: 240
; IeeeMode: 1
; LDSByteSize: 2064 bytes/workgroup (compile time only)
; SGPRBlocks: 2
; VGPRBlocks: 1
; NumSGPRsForWavesPerEU: 22
; NumVGPRsForWavesPerEU: 16
; AccumOffset: 16
; Occupancy: 8
; WaveLimiterHint : 0
; COMPUTE_PGM_RSRC2:SCRATCH_EN: 0
; COMPUTE_PGM_RSRC2:USER_SGPR: 6
; COMPUTE_PGM_RSRC2:TRAP_HANDLER: 0
; COMPUTE_PGM_RSRC2:TGID_X_EN: 1
; COMPUTE_PGM_RSRC2:TGID_Y_EN: 0
; COMPUTE_PGM_RSRC2:TGID_Z_EN: 0
; COMPUTE_PGM_RSRC2:TIDIG_COMP_CNT: 0
; COMPUTE_PGM_RSRC3_GFX90A:ACCUM_OFFSET: 3
; COMPUTE_PGM_RSRC3_GFX90A:TG_SPLIT: 0
	.section	.text._Z11rank_kernelILj193ELj2ELj4ELb1EL18RadixRankAlgorithm2E12hip_bfloat16EvPKT4_Pijj,"axG",@progbits,_Z11rank_kernelILj193ELj2ELj4ELb1EL18RadixRankAlgorithm2E12hip_bfloat16EvPKT4_Pijj,comdat
	.protected	_Z11rank_kernelILj193ELj2ELj4ELb1EL18RadixRankAlgorithm2E12hip_bfloat16EvPKT4_Pijj ; -- Begin function _Z11rank_kernelILj193ELj2ELj4ELb1EL18RadixRankAlgorithm2E12hip_bfloat16EvPKT4_Pijj
	.globl	_Z11rank_kernelILj193ELj2ELj4ELb1EL18RadixRankAlgorithm2E12hip_bfloat16EvPKT4_Pijj
	.p2align	8
	.type	_Z11rank_kernelILj193ELj2ELj4ELb1EL18RadixRankAlgorithm2E12hip_bfloat16EvPKT4_Pijj,@function
_Z11rank_kernelILj193ELj2ELj4ELb1EL18RadixRankAlgorithm2E12hip_bfloat16EvPKT4_Pijj: ; @_Z11rank_kernelILj193ELj2ELj4ELb1EL18RadixRankAlgorithm2E12hip_bfloat16EvPKT4_Pijj
; %bb.0:
	s_load_dwordx4 s[0:3], s[4:5], 0x0
	s_load_dwordx2 s[10:11], s[4:5], 0x10
	s_mulk_i32 s6, 0x182
	s_mov_b32 s7, 0
	s_lshl_b64 s[8:9], s[6:7], 1
	v_and_b32_e32 v2, 0x3ff, v0
	s_waitcnt lgkmcnt(0)
	s_add_u32 s0, s0, s8
	s_addc_u32 s1, s1, s9
	v_lshlrev_b32_e32 v3, 2, v2
	global_load_dword v5, v3, s[0:1]
	s_load_dword s4, s[4:5], 0x24
	v_mbcnt_lo_u32_b32 v1, -1, 0
	s_movk_i32 s0, 0xc0
	v_and_b32_e32 v15, 0xc0, v2
	s_movk_i32 s1, 0x180
	v_mbcnt_hi_u32_b32 v13, -1, v1
	v_lshlrev_b32_e32 v6, 1, v2
	v_cmp_eq_u32_e32 vcc, s0, v15
	v_and_or_b32 v9, v6, s1, v13
	v_cndmask_b32_e64 v10, 64, 1, vcc
	v_add_u32_e32 v8, v13, v15
	v_add_u32_e32 v10, v9, v10
	v_bfe_u32 v1, v0, 10, 10
	v_bfe_u32 v0, v0, 20, 10
	v_lshlrev_b32_e32 v7, 1, v8
	v_bfe_u32 v8, v8, 4, 27
	v_lshrrev_b32_e32 v11, 5, v9
	v_lshrrev_b32_e32 v12, 5, v10
	s_waitcnt lgkmcnt(0)
	s_lshr_b32 s0, s4, 16
	v_and_b32_e32 v14, 30, v8
	v_and_b32_e32 v16, 14, v11
	;; [unrolled: 1-line block ×3, first 2 shown]
	s_and_b32 s1, s4, 0xffff
	v_mad_u32_u24 v0, v0, s0, v1
	v_add_lshl_u32 v14, v14, v7, 1
	v_add_lshl_u32 v16, v16, v9, 1
	;; [unrolled: 1-line block ×3, first 2 shown]
	v_mad_u64_u32 v[0:1], s[0:1], v0, s1, v[2:3]
	v_lshrrev_b32_e32 v18, 6, v0
	v_mov_b32_e32 v17, 0xffff8000
	s_and_b32 s11, s11, 31
	s_cmp_eq_u32 s11, 0
	s_movk_i32 s8, 0x7fff
	s_cselect_b64 s[4:5], -1, 0
	s_and_b32 s0, s10, 31
	s_add_i32 s0, s0, s11
	s_sub_i32 s10, 32, s0
	s_sub_i32 s9, 32, s11
	v_mov_b32_e32 v4, 0
	s_waitcnt vmcnt(0)
	ds_write_b32 v14, v5
	; wave barrier
	ds_read_u16 v0, v16
	ds_read_u16 v19, v19
	s_waitcnt lgkmcnt(0)
	s_barrier
	v_cmp_lt_i16_e32 vcc, -1, v0
	v_cndmask_b32_e32 v1, -1, v17, vcc
	v_xor_b32_e32 v0, v1, v0
	v_cmp_ne_u16_e32 vcc, s8, v0
	v_cndmask_b32_e32 v0, v17, v0, vcc
	v_lshlrev_b32_sdwa v0, s10, v0 dst_sel:DWORD dst_unused:UNUSED_PAD src0_sel:DWORD src1_sel:WORD_0
	v_bfe_u32 v0, v0, s9, 16
	v_xor_b32_e32 v0, 15, v0
	v_cndmask_b32_e64 v0, v0, 15, s[4:5]
	v_mul_u32_u24_e32 v1, 5, v0
	v_and_b32_e32 v16, 1, v0
	v_add_lshl_u32 v14, v1, v18, 2
	v_add_co_u32_e32 v1, vcc, -1, v16
	v_lshlrev_b32_e32 v5, 30, v0
	v_addc_co_u32_e64 v20, s[0:1], 0, -1, vcc
	v_cmp_ne_u32_e32 vcc, 0, v16
	v_cmp_gt_i64_e64 s[0:1], 0, v[4:5]
	v_not_b32_e32 v16, v5
	v_lshlrev_b32_e32 v5, 29, v0
	v_xor_b32_e32 v20, vcc_hi, v20
	v_xor_b32_e32 v1, vcc_lo, v1
	v_ashrrev_i32_e32 v16, 31, v16
	v_cmp_gt_i64_e32 vcc, 0, v[4:5]
	v_not_b32_e32 v21, v5
	v_lshlrev_b32_e32 v5, 28, v0
	v_and_b32_e32 v0, exec_hi, v20
	v_and_b32_e32 v1, exec_lo, v1
	v_xor_b32_e32 v20, s1, v16
	v_xor_b32_e32 v16, s0, v16
	v_ashrrev_i32_e32 v21, 31, v21
	v_cmp_gt_i64_e64 s[0:1], 0, v[4:5]
	v_not_b32_e32 v5, v5
	v_and_b32_e32 v0, v0, v20
	v_and_b32_e32 v1, v1, v16
	v_xor_b32_e32 v16, vcc_hi, v21
	v_xor_b32_e32 v20, vcc_lo, v21
	v_ashrrev_i32_e32 v5, 31, v5
	v_and_b32_e32 v0, v0, v16
	v_and_b32_e32 v16, v1, v20
	v_xor_b32_e32 v1, s1, v5
	v_xor_b32_e32 v5, s0, v5
	v_and_b32_e32 v1, v0, v1
	v_and_b32_e32 v0, v16, v5
	v_mbcnt_lo_u32_b32 v5, v0, 0
	v_mbcnt_hi_u32_b32 v16, v1, v5
	v_cmp_eq_u32_e32 vcc, 0, v16
	v_cmp_ne_u64_e64 s[0:1], 0, v[0:1]
	s_and_b64 s[12:13], vcc, s[0:1]
	ds_write_b32 v3, v4 offset:16
	s_waitcnt lgkmcnt(0)
	s_barrier
	s_waitcnt lgkmcnt(0)
	; wave barrier
	s_and_saveexec_b64 s[0:1], s[12:13]
	s_cbranch_execz .LBB50_2
; %bb.1:
	v_bcnt_u32_b32 v0, v0, 0
	v_bcnt_u32_b32 v0, v1, v0
	ds_write_b32 v14, v0 offset:16
.LBB50_2:
	s_or_b64 exec, exec, s[0:1]
	v_cmp_lt_i16_e32 vcc, -1, v19
	v_cndmask_b32_e32 v0, -1, v17, vcc
	v_xor_b32_e32 v0, v0, v19
	v_cmp_ne_u16_e32 vcc, s8, v0
	v_cndmask_b32_e32 v0, v17, v0, vcc
	v_lshlrev_b32_sdwa v0, s10, v0 dst_sel:DWORD dst_unused:UNUSED_PAD src0_sel:DWORD src1_sel:WORD_0
	v_bfe_u32 v0, v0, s9, 16
	v_xor_b32_e32 v0, 15, v0
	v_cndmask_b32_e64 v0, v0, 15, s[4:5]
	v_mul_u32_u24_e32 v1, 5, v0
	v_add_lshl_u32 v18, v1, v18, 2
	v_and_b32_e32 v1, 1, v0
	v_add_co_u32_e32 v5, vcc, -1, v1
	v_addc_co_u32_e64 v19, s[0:1], 0, -1, vcc
	v_cmp_ne_u32_e32 vcc, 0, v1
	v_xor_b32_e32 v5, vcc_lo, v5
	v_xor_b32_e32 v1, vcc_hi, v19
	v_and_b32_e32 v19, exec_lo, v5
	v_lshlrev_b32_e32 v5, 30, v0
	v_cmp_gt_i64_e32 vcc, 0, v[4:5]
	v_not_b32_e32 v5, v5
	v_ashrrev_i32_e32 v5, 31, v5
	v_xor_b32_e32 v20, vcc_hi, v5
	v_xor_b32_e32 v5, vcc_lo, v5
	v_and_b32_e32 v19, v19, v5
	v_lshlrev_b32_e32 v5, 29, v0
	v_cmp_gt_i64_e32 vcc, 0, v[4:5]
	v_not_b32_e32 v5, v5
	v_and_b32_e32 v1, exec_hi, v1
	v_ashrrev_i32_e32 v5, 31, v5
	v_and_b32_e32 v1, v1, v20
	v_xor_b32_e32 v20, vcc_hi, v5
	v_xor_b32_e32 v5, vcc_lo, v5
	v_and_b32_e32 v19, v19, v5
	v_lshlrev_b32_e32 v5, 28, v0
	v_not_b32_e32 v0, v5
	v_cmp_gt_i64_e32 vcc, 0, v[4:5]
	v_ashrrev_i32_e32 v0, 31, v0
	v_xor_b32_e32 v4, vcc_hi, v0
	v_xor_b32_e32 v0, vcc_lo, v0
	; wave barrier
	ds_read_b32 v17, v18 offset:16
	v_and_b32_e32 v1, v1, v20
	v_and_b32_e32 v0, v19, v0
	;; [unrolled: 1-line block ×3, first 2 shown]
	v_mbcnt_lo_u32_b32 v4, v0, 0
	v_mbcnt_hi_u32_b32 v4, v1, v4
	v_cmp_eq_u32_e32 vcc, 0, v4
	v_cmp_ne_u64_e64 s[0:1], 0, v[0:1]
	s_and_b64 s[4:5], vcc, s[0:1]
	; wave barrier
	s_and_saveexec_b64 s[0:1], s[4:5]
	s_cbranch_execz .LBB50_4
; %bb.3:
	v_bcnt_u32_b32 v0, v0, 0
	v_bcnt_u32_b32 v0, v1, v0
	s_waitcnt lgkmcnt(0)
	v_add_u32_e32 v0, v17, v0
	ds_write_b32 v18, v0 offset:16
.LBB50_4:
	s_or_b64 exec, exec, s[0:1]
	; wave barrier
	s_waitcnt lgkmcnt(0)
	s_barrier
	ds_read_b32 v0, v3 offset:16
	v_and_b32_e32 v1, 15, v13
	v_cmp_ne_u32_e32 vcc, 0, v1
	s_waitcnt lgkmcnt(0)
	v_mov_b32_dpp v5, v0 row_shr:1 row_mask:0xf bank_mask:0xf
	v_cndmask_b32_e32 v5, 0, v5, vcc
	v_add_u32_e32 v0, v5, v0
	v_cmp_lt_u32_e32 vcc, 1, v1
	s_nop 0
	v_mov_b32_dpp v5, v0 row_shr:2 row_mask:0xf bank_mask:0xf
	v_cndmask_b32_e32 v5, 0, v5, vcc
	v_add_u32_e32 v0, v0, v5
	v_cmp_lt_u32_e32 vcc, 3, v1
	s_nop 0
	;; [unrolled: 5-line block ×3, first 2 shown]
	v_mov_b32_dpp v5, v0 row_shr:8 row_mask:0xf bank_mask:0xf
	v_cndmask_b32_e32 v1, 0, v5, vcc
	v_add_u32_e32 v0, v0, v1
	v_bfe_i32 v5, v13, 4, 1
	v_cmp_lt_u32_e32 vcc, 31, v13
	v_mov_b32_dpp v1, v0 row_bcast:15 row_mask:0xf bank_mask:0xf
	v_and_b32_e32 v1, v5, v1
	v_add_u32_e32 v0, v0, v1
	v_min_u32_e32 v5, 0x81, v15
	v_add_u32_e32 v5, 63, v5
	v_mov_b32_dpp v1, v0 row_bcast:31 row_mask:0xf bank_mask:0xf
	v_cndmask_b32_e32 v1, 0, v1, vcc
	v_add_u32_e32 v0, v0, v1
	v_lshrrev_b32_e32 v1, 6, v2
	v_cmp_eq_u32_e32 vcc, v5, v2
	s_and_saveexec_b64 s[0:1], vcc
	s_xor_b64 s[0:1], exec, s[0:1]
	s_cbranch_execz .LBB50_6
; %bb.5:
	v_lshlrev_b32_e32 v5, 2, v1
	ds_write_b32 v5, v0
.LBB50_6:
	s_or_b64 exec, exec, s[0:1]
	v_cmp_gt_u32_e32 vcc, 4, v2
	s_waitcnt lgkmcnt(0)
	s_barrier
	s_and_saveexec_b64 s[0:1], vcc
	s_cbranch_execz .LBB50_8
; %bb.7:
	ds_read_b32 v5, v3
	v_and_b32_e32 v15, 3, v13
	v_cmp_ne_u32_e32 vcc, 0, v15
	s_waitcnt lgkmcnt(0)
	v_mov_b32_dpp v19, v5 row_shr:1 row_mask:0xf bank_mask:0xf
	v_cndmask_b32_e32 v19, 0, v19, vcc
	v_add_u32_e32 v5, v19, v5
	v_cmp_lt_u32_e32 vcc, 1, v15
	s_nop 0
	v_mov_b32_dpp v19, v5 row_shr:2 row_mask:0xf bank_mask:0xf
	v_cndmask_b32_e32 v15, 0, v19, vcc
	v_add_u32_e32 v5, v5, v15
	ds_write_b32 v3, v5
.LBB50_8:
	s_or_b64 exec, exec, s[0:1]
	v_cmp_lt_u32_e32 vcc, 63, v2
	v_mov_b32_e32 v2, 0
	s_waitcnt lgkmcnt(0)
	s_barrier
	s_and_saveexec_b64 s[0:1], vcc
	s_cbranch_execz .LBB50_10
; %bb.9:
	v_lshl_add_u32 v1, v1, 2, -4
	ds_read_b32 v2, v1
.LBB50_10:
	s_or_b64 exec, exec, s[0:1]
	v_add_u32_e32 v1, -1, v13
	v_and_b32_e32 v5, 64, v13
	v_cmp_lt_i32_e32 vcc, v1, v5
	v_cndmask_b32_e32 v1, v1, v13, vcc
	s_waitcnt lgkmcnt(0)
	v_add_u32_e32 v0, v2, v0
	v_lshlrev_b32_e32 v1, 2, v1
	ds_bpermute_b32 v0, v1, v0
	v_cmp_eq_u32_e32 vcc, 0, v13
	s_lshl_b64 s[0:1], s[6:7], 2
	s_add_u32 s0, s2, s0
	s_addc_u32 s1, s3, s1
	s_waitcnt lgkmcnt(0)
	v_cndmask_b32_e32 v0, v0, v2, vcc
	ds_write_b32 v3, v0 offset:16
	s_waitcnt lgkmcnt(0)
	s_barrier
	ds_read_b32 v0, v14 offset:16
	ds_read_b32 v1, v18 offset:16
	v_add_lshl_u32 v2, v11, v9, 2
	s_waitcnt lgkmcnt(0)
	s_barrier
	v_add_u32_e32 v0, v0, v16
	v_add3_u32 v1, v4, v17, v1
	ds_write_b32 v2, v0
	v_add_lshl_u32 v0, v12, v10, 2
	ds_write_b32 v0, v1
	v_add_lshl_u32 v0, v8, v7, 2
	; wave barrier
	ds_read2_b32 v[0:1], v0 offset1:1
	v_lshlrev_b32_e32 v2, 2, v6
	s_waitcnt lgkmcnt(0)
	global_store_dwordx2 v2, v[0:1], s[0:1]
	s_endpgm
	.section	.rodata,"a",@progbits
	.p2align	6, 0x0
	.amdhsa_kernel _Z11rank_kernelILj193ELj2ELj4ELb1EL18RadixRankAlgorithm2E12hip_bfloat16EvPKT4_Pijj
		.amdhsa_group_segment_fixed_size 1600
		.amdhsa_private_segment_fixed_size 0
		.amdhsa_kernarg_size 280
		.amdhsa_user_sgpr_count 6
		.amdhsa_user_sgpr_private_segment_buffer 1
		.amdhsa_user_sgpr_dispatch_ptr 0
		.amdhsa_user_sgpr_queue_ptr 0
		.amdhsa_user_sgpr_kernarg_segment_ptr 1
		.amdhsa_user_sgpr_dispatch_id 0
		.amdhsa_user_sgpr_flat_scratch_init 0
		.amdhsa_user_sgpr_kernarg_preload_length 0
		.amdhsa_user_sgpr_kernarg_preload_offset 0
		.amdhsa_user_sgpr_private_segment_size 0
		.amdhsa_uses_dynamic_stack 0
		.amdhsa_system_sgpr_private_segment_wavefront_offset 0
		.amdhsa_system_sgpr_workgroup_id_x 1
		.amdhsa_system_sgpr_workgroup_id_y 0
		.amdhsa_system_sgpr_workgroup_id_z 0
		.amdhsa_system_sgpr_workgroup_info 0
		.amdhsa_system_vgpr_workitem_id 2
		.amdhsa_next_free_vgpr 22
		.amdhsa_next_free_sgpr 14
		.amdhsa_accum_offset 24
		.amdhsa_reserve_vcc 1
		.amdhsa_reserve_flat_scratch 0
		.amdhsa_float_round_mode_32 0
		.amdhsa_float_round_mode_16_64 0
		.amdhsa_float_denorm_mode_32 3
		.amdhsa_float_denorm_mode_16_64 3
		.amdhsa_dx10_clamp 1
		.amdhsa_ieee_mode 1
		.amdhsa_fp16_overflow 0
		.amdhsa_tg_split 0
		.amdhsa_exception_fp_ieee_invalid_op 0
		.amdhsa_exception_fp_denorm_src 0
		.amdhsa_exception_fp_ieee_div_zero 0
		.amdhsa_exception_fp_ieee_overflow 0
		.amdhsa_exception_fp_ieee_underflow 0
		.amdhsa_exception_fp_ieee_inexact 0
		.amdhsa_exception_int_div_zero 0
	.end_amdhsa_kernel
	.section	.text._Z11rank_kernelILj193ELj2ELj4ELb1EL18RadixRankAlgorithm2E12hip_bfloat16EvPKT4_Pijj,"axG",@progbits,_Z11rank_kernelILj193ELj2ELj4ELb1EL18RadixRankAlgorithm2E12hip_bfloat16EvPKT4_Pijj,comdat
.Lfunc_end50:
	.size	_Z11rank_kernelILj193ELj2ELj4ELb1EL18RadixRankAlgorithm2E12hip_bfloat16EvPKT4_Pijj, .Lfunc_end50-_Z11rank_kernelILj193ELj2ELj4ELb1EL18RadixRankAlgorithm2E12hip_bfloat16EvPKT4_Pijj
                                        ; -- End function
	.section	.AMDGPU.csdata,"",@progbits
; Kernel info:
; codeLenInByte = 1408
; NumSgprs: 18
; NumVgprs: 22
; NumAgprs: 0
; TotalNumVgprs: 22
; ScratchSize: 0
; MemoryBound: 0
; FloatMode: 240
; IeeeMode: 1
; LDSByteSize: 1600 bytes/workgroup (compile time only)
; SGPRBlocks: 2
; VGPRBlocks: 2
; NumSGPRsForWavesPerEU: 18
; NumVGPRsForWavesPerEU: 22
; AccumOffset: 24
; Occupancy: 8
; WaveLimiterHint : 0
; COMPUTE_PGM_RSRC2:SCRATCH_EN: 0
; COMPUTE_PGM_RSRC2:USER_SGPR: 6
; COMPUTE_PGM_RSRC2:TRAP_HANDLER: 0
; COMPUTE_PGM_RSRC2:TGID_X_EN: 1
; COMPUTE_PGM_RSRC2:TGID_Y_EN: 0
; COMPUTE_PGM_RSRC2:TGID_Z_EN: 0
; COMPUTE_PGM_RSRC2:TIDIG_COMP_CNT: 2
; COMPUTE_PGM_RSRC3_GFX90A:ACCUM_OFFSET: 5
; COMPUTE_PGM_RSRC3_GFX90A:TG_SPLIT: 0
	.section	.text._Z11rank_kernelILj193ELj2ELj4ELb1EL18RadixRankAlgorithm2E6__halfEvPKT4_Pijj,"axG",@progbits,_Z11rank_kernelILj193ELj2ELj4ELb1EL18RadixRankAlgorithm2E6__halfEvPKT4_Pijj,comdat
	.protected	_Z11rank_kernelILj193ELj2ELj4ELb1EL18RadixRankAlgorithm2E6__halfEvPKT4_Pijj ; -- Begin function _Z11rank_kernelILj193ELj2ELj4ELb1EL18RadixRankAlgorithm2E6__halfEvPKT4_Pijj
	.globl	_Z11rank_kernelILj193ELj2ELj4ELb1EL18RadixRankAlgorithm2E6__halfEvPKT4_Pijj
	.p2align	8
	.type	_Z11rank_kernelILj193ELj2ELj4ELb1EL18RadixRankAlgorithm2E6__halfEvPKT4_Pijj,@function
_Z11rank_kernelILj193ELj2ELj4ELb1EL18RadixRankAlgorithm2E6__halfEvPKT4_Pijj: ; @_Z11rank_kernelILj193ELj2ELj4ELb1EL18RadixRankAlgorithm2E6__halfEvPKT4_Pijj
; %bb.0:
	s_load_dwordx4 s[0:3], s[4:5], 0x0
	s_load_dwordx2 s[10:11], s[4:5], 0x10
	s_mulk_i32 s6, 0x182
	s_mov_b32 s7, 0
	s_lshl_b64 s[8:9], s[6:7], 1
	v_and_b32_e32 v2, 0x3ff, v0
	s_waitcnt lgkmcnt(0)
	s_add_u32 s0, s0, s8
	s_addc_u32 s1, s1, s9
	v_lshlrev_b32_e32 v3, 2, v2
	global_load_dword v5, v3, s[0:1]
	s_load_dword s4, s[4:5], 0x24
	v_mbcnt_lo_u32_b32 v1, -1, 0
	s_movk_i32 s0, 0xc0
	v_and_b32_e32 v15, 0xc0, v2
	s_movk_i32 s1, 0x180
	v_mbcnt_hi_u32_b32 v13, -1, v1
	v_lshlrev_b32_e32 v6, 1, v2
	v_cmp_eq_u32_e32 vcc, s0, v15
	v_and_or_b32 v9, v6, s1, v13
	v_cndmask_b32_e64 v10, 64, 1, vcc
	v_add_u32_e32 v8, v13, v15
	v_add_u32_e32 v10, v9, v10
	v_bfe_u32 v1, v0, 10, 10
	v_bfe_u32 v0, v0, 20, 10
	v_lshlrev_b32_e32 v7, 1, v8
	v_bfe_u32 v8, v8, 4, 27
	v_lshrrev_b32_e32 v11, 5, v9
	v_lshrrev_b32_e32 v12, 5, v10
	s_waitcnt lgkmcnt(0)
	s_lshr_b32 s0, s4, 16
	v_and_b32_e32 v14, 30, v8
	v_and_b32_e32 v16, 14, v11
	;; [unrolled: 1-line block ×3, first 2 shown]
	s_and_b32 s1, s4, 0xffff
	v_mad_u32_u24 v0, v0, s0, v1
	v_add_lshl_u32 v14, v14, v7, 1
	v_add_lshl_u32 v16, v16, v9, 1
	;; [unrolled: 1-line block ×3, first 2 shown]
	v_mad_u64_u32 v[0:1], s[0:1], v0, s1, v[2:3]
	v_lshrrev_b32_e32 v18, 6, v0
	v_mov_b32_e32 v17, 0xffff8000
	s_and_b32 s11, s11, 31
	s_cmp_eq_u32 s11, 0
	s_movk_i32 s8, 0x7fff
	s_cselect_b64 s[4:5], -1, 0
	s_and_b32 s0, s10, 31
	s_add_i32 s0, s0, s11
	s_sub_i32 s10, 32, s0
	s_sub_i32 s9, 32, s11
	v_mov_b32_e32 v4, 0
	s_waitcnt vmcnt(0)
	ds_write_b32 v14, v5
	; wave barrier
	ds_read_u16 v0, v16
	ds_read_u16 v19, v19
	s_waitcnt lgkmcnt(0)
	s_barrier
	v_cmp_lt_i16_e32 vcc, -1, v0
	v_cndmask_b32_e32 v1, -1, v17, vcc
	v_xor_b32_e32 v0, v1, v0
	v_cmp_ne_u16_e32 vcc, s8, v0
	v_cndmask_b32_e32 v0, v17, v0, vcc
	v_lshlrev_b32_sdwa v0, s10, v0 dst_sel:DWORD dst_unused:UNUSED_PAD src0_sel:DWORD src1_sel:WORD_0
	v_bfe_u32 v0, v0, s9, 16
	v_xor_b32_e32 v0, 15, v0
	v_cndmask_b32_e64 v0, v0, 15, s[4:5]
	v_mul_u32_u24_e32 v1, 5, v0
	v_and_b32_e32 v16, 1, v0
	v_add_lshl_u32 v14, v1, v18, 2
	v_add_co_u32_e32 v1, vcc, -1, v16
	v_lshlrev_b32_e32 v5, 30, v0
	v_addc_co_u32_e64 v20, s[0:1], 0, -1, vcc
	v_cmp_ne_u32_e32 vcc, 0, v16
	v_cmp_gt_i64_e64 s[0:1], 0, v[4:5]
	v_not_b32_e32 v16, v5
	v_lshlrev_b32_e32 v5, 29, v0
	v_xor_b32_e32 v20, vcc_hi, v20
	v_xor_b32_e32 v1, vcc_lo, v1
	v_ashrrev_i32_e32 v16, 31, v16
	v_cmp_gt_i64_e32 vcc, 0, v[4:5]
	v_not_b32_e32 v21, v5
	v_lshlrev_b32_e32 v5, 28, v0
	v_and_b32_e32 v0, exec_hi, v20
	v_and_b32_e32 v1, exec_lo, v1
	v_xor_b32_e32 v20, s1, v16
	v_xor_b32_e32 v16, s0, v16
	v_ashrrev_i32_e32 v21, 31, v21
	v_cmp_gt_i64_e64 s[0:1], 0, v[4:5]
	v_not_b32_e32 v5, v5
	v_and_b32_e32 v0, v0, v20
	v_and_b32_e32 v1, v1, v16
	v_xor_b32_e32 v16, vcc_hi, v21
	v_xor_b32_e32 v20, vcc_lo, v21
	v_ashrrev_i32_e32 v5, 31, v5
	v_and_b32_e32 v0, v0, v16
	v_and_b32_e32 v16, v1, v20
	v_xor_b32_e32 v1, s1, v5
	v_xor_b32_e32 v5, s0, v5
	v_and_b32_e32 v1, v0, v1
	v_and_b32_e32 v0, v16, v5
	v_mbcnt_lo_u32_b32 v5, v0, 0
	v_mbcnt_hi_u32_b32 v16, v1, v5
	v_cmp_eq_u32_e32 vcc, 0, v16
	v_cmp_ne_u64_e64 s[0:1], 0, v[0:1]
	s_and_b64 s[12:13], vcc, s[0:1]
	ds_write_b32 v3, v4 offset:16
	s_waitcnt lgkmcnt(0)
	s_barrier
	s_waitcnt lgkmcnt(0)
	; wave barrier
	s_and_saveexec_b64 s[0:1], s[12:13]
	s_cbranch_execz .LBB51_2
; %bb.1:
	v_bcnt_u32_b32 v0, v0, 0
	v_bcnt_u32_b32 v0, v1, v0
	ds_write_b32 v14, v0 offset:16
.LBB51_2:
	s_or_b64 exec, exec, s[0:1]
	v_cmp_lt_i16_e32 vcc, -1, v19
	v_cndmask_b32_e32 v0, -1, v17, vcc
	v_xor_b32_e32 v0, v0, v19
	v_cmp_ne_u16_e32 vcc, s8, v0
	v_cndmask_b32_e32 v0, v17, v0, vcc
	v_lshlrev_b32_sdwa v0, s10, v0 dst_sel:DWORD dst_unused:UNUSED_PAD src0_sel:DWORD src1_sel:WORD_0
	v_bfe_u32 v0, v0, s9, 16
	v_xor_b32_e32 v0, 15, v0
	v_cndmask_b32_e64 v0, v0, 15, s[4:5]
	v_mul_u32_u24_e32 v1, 5, v0
	v_add_lshl_u32 v18, v1, v18, 2
	v_and_b32_e32 v1, 1, v0
	v_add_co_u32_e32 v5, vcc, -1, v1
	v_addc_co_u32_e64 v19, s[0:1], 0, -1, vcc
	v_cmp_ne_u32_e32 vcc, 0, v1
	v_xor_b32_e32 v5, vcc_lo, v5
	v_xor_b32_e32 v1, vcc_hi, v19
	v_and_b32_e32 v19, exec_lo, v5
	v_lshlrev_b32_e32 v5, 30, v0
	v_cmp_gt_i64_e32 vcc, 0, v[4:5]
	v_not_b32_e32 v5, v5
	v_ashrrev_i32_e32 v5, 31, v5
	v_xor_b32_e32 v20, vcc_hi, v5
	v_xor_b32_e32 v5, vcc_lo, v5
	v_and_b32_e32 v19, v19, v5
	v_lshlrev_b32_e32 v5, 29, v0
	v_cmp_gt_i64_e32 vcc, 0, v[4:5]
	v_not_b32_e32 v5, v5
	v_and_b32_e32 v1, exec_hi, v1
	v_ashrrev_i32_e32 v5, 31, v5
	v_and_b32_e32 v1, v1, v20
	v_xor_b32_e32 v20, vcc_hi, v5
	v_xor_b32_e32 v5, vcc_lo, v5
	v_and_b32_e32 v19, v19, v5
	v_lshlrev_b32_e32 v5, 28, v0
	v_not_b32_e32 v0, v5
	v_cmp_gt_i64_e32 vcc, 0, v[4:5]
	v_ashrrev_i32_e32 v0, 31, v0
	v_xor_b32_e32 v4, vcc_hi, v0
	v_xor_b32_e32 v0, vcc_lo, v0
	; wave barrier
	ds_read_b32 v17, v18 offset:16
	v_and_b32_e32 v1, v1, v20
	v_and_b32_e32 v0, v19, v0
	;; [unrolled: 1-line block ×3, first 2 shown]
	v_mbcnt_lo_u32_b32 v4, v0, 0
	v_mbcnt_hi_u32_b32 v4, v1, v4
	v_cmp_eq_u32_e32 vcc, 0, v4
	v_cmp_ne_u64_e64 s[0:1], 0, v[0:1]
	s_and_b64 s[4:5], vcc, s[0:1]
	; wave barrier
	s_and_saveexec_b64 s[0:1], s[4:5]
	s_cbranch_execz .LBB51_4
; %bb.3:
	v_bcnt_u32_b32 v0, v0, 0
	v_bcnt_u32_b32 v0, v1, v0
	s_waitcnt lgkmcnt(0)
	v_add_u32_e32 v0, v17, v0
	ds_write_b32 v18, v0 offset:16
.LBB51_4:
	s_or_b64 exec, exec, s[0:1]
	; wave barrier
	s_waitcnt lgkmcnt(0)
	s_barrier
	ds_read_b32 v0, v3 offset:16
	v_and_b32_e32 v1, 15, v13
	v_cmp_ne_u32_e32 vcc, 0, v1
	s_waitcnt lgkmcnt(0)
	v_mov_b32_dpp v5, v0 row_shr:1 row_mask:0xf bank_mask:0xf
	v_cndmask_b32_e32 v5, 0, v5, vcc
	v_add_u32_e32 v0, v5, v0
	v_cmp_lt_u32_e32 vcc, 1, v1
	s_nop 0
	v_mov_b32_dpp v5, v0 row_shr:2 row_mask:0xf bank_mask:0xf
	v_cndmask_b32_e32 v5, 0, v5, vcc
	v_add_u32_e32 v0, v0, v5
	v_cmp_lt_u32_e32 vcc, 3, v1
	s_nop 0
	;; [unrolled: 5-line block ×3, first 2 shown]
	v_mov_b32_dpp v5, v0 row_shr:8 row_mask:0xf bank_mask:0xf
	v_cndmask_b32_e32 v1, 0, v5, vcc
	v_add_u32_e32 v0, v0, v1
	v_bfe_i32 v5, v13, 4, 1
	v_cmp_lt_u32_e32 vcc, 31, v13
	v_mov_b32_dpp v1, v0 row_bcast:15 row_mask:0xf bank_mask:0xf
	v_and_b32_e32 v1, v5, v1
	v_add_u32_e32 v0, v0, v1
	v_min_u32_e32 v5, 0x81, v15
	v_add_u32_e32 v5, 63, v5
	v_mov_b32_dpp v1, v0 row_bcast:31 row_mask:0xf bank_mask:0xf
	v_cndmask_b32_e32 v1, 0, v1, vcc
	v_add_u32_e32 v0, v0, v1
	v_lshrrev_b32_e32 v1, 6, v2
	v_cmp_eq_u32_e32 vcc, v5, v2
	s_and_saveexec_b64 s[0:1], vcc
	s_xor_b64 s[0:1], exec, s[0:1]
	s_cbranch_execz .LBB51_6
; %bb.5:
	v_lshlrev_b32_e32 v5, 2, v1
	ds_write_b32 v5, v0
.LBB51_6:
	s_or_b64 exec, exec, s[0:1]
	v_cmp_gt_u32_e32 vcc, 4, v2
	s_waitcnt lgkmcnt(0)
	s_barrier
	s_and_saveexec_b64 s[0:1], vcc
	s_cbranch_execz .LBB51_8
; %bb.7:
	ds_read_b32 v5, v3
	v_and_b32_e32 v15, 3, v13
	v_cmp_ne_u32_e32 vcc, 0, v15
	s_waitcnt lgkmcnt(0)
	v_mov_b32_dpp v19, v5 row_shr:1 row_mask:0xf bank_mask:0xf
	v_cndmask_b32_e32 v19, 0, v19, vcc
	v_add_u32_e32 v5, v19, v5
	v_cmp_lt_u32_e32 vcc, 1, v15
	s_nop 0
	v_mov_b32_dpp v19, v5 row_shr:2 row_mask:0xf bank_mask:0xf
	v_cndmask_b32_e32 v15, 0, v19, vcc
	v_add_u32_e32 v5, v5, v15
	ds_write_b32 v3, v5
.LBB51_8:
	s_or_b64 exec, exec, s[0:1]
	v_cmp_lt_u32_e32 vcc, 63, v2
	v_mov_b32_e32 v2, 0
	s_waitcnt lgkmcnt(0)
	s_barrier
	s_and_saveexec_b64 s[0:1], vcc
	s_cbranch_execz .LBB51_10
; %bb.9:
	v_lshl_add_u32 v1, v1, 2, -4
	ds_read_b32 v2, v1
.LBB51_10:
	s_or_b64 exec, exec, s[0:1]
	v_add_u32_e32 v1, -1, v13
	v_and_b32_e32 v5, 64, v13
	v_cmp_lt_i32_e32 vcc, v1, v5
	v_cndmask_b32_e32 v1, v1, v13, vcc
	s_waitcnt lgkmcnt(0)
	v_add_u32_e32 v0, v2, v0
	v_lshlrev_b32_e32 v1, 2, v1
	ds_bpermute_b32 v0, v1, v0
	v_cmp_eq_u32_e32 vcc, 0, v13
	s_lshl_b64 s[0:1], s[6:7], 2
	s_add_u32 s0, s2, s0
	s_addc_u32 s1, s3, s1
	s_waitcnt lgkmcnt(0)
	v_cndmask_b32_e32 v0, v0, v2, vcc
	ds_write_b32 v3, v0 offset:16
	s_waitcnt lgkmcnt(0)
	s_barrier
	ds_read_b32 v0, v14 offset:16
	ds_read_b32 v1, v18 offset:16
	v_add_lshl_u32 v2, v11, v9, 2
	s_waitcnt lgkmcnt(0)
	s_barrier
	v_add_u32_e32 v0, v0, v16
	v_add3_u32 v1, v4, v17, v1
	ds_write_b32 v2, v0
	v_add_lshl_u32 v0, v12, v10, 2
	ds_write_b32 v0, v1
	v_add_lshl_u32 v0, v8, v7, 2
	; wave barrier
	ds_read2_b32 v[0:1], v0 offset1:1
	v_lshlrev_b32_e32 v2, 2, v6
	s_waitcnt lgkmcnt(0)
	global_store_dwordx2 v2, v[0:1], s[0:1]
	s_endpgm
	.section	.rodata,"a",@progbits
	.p2align	6, 0x0
	.amdhsa_kernel _Z11rank_kernelILj193ELj2ELj4ELb1EL18RadixRankAlgorithm2E6__halfEvPKT4_Pijj
		.amdhsa_group_segment_fixed_size 1600
		.amdhsa_private_segment_fixed_size 0
		.amdhsa_kernarg_size 280
		.amdhsa_user_sgpr_count 6
		.amdhsa_user_sgpr_private_segment_buffer 1
		.amdhsa_user_sgpr_dispatch_ptr 0
		.amdhsa_user_sgpr_queue_ptr 0
		.amdhsa_user_sgpr_kernarg_segment_ptr 1
		.amdhsa_user_sgpr_dispatch_id 0
		.amdhsa_user_sgpr_flat_scratch_init 0
		.amdhsa_user_sgpr_kernarg_preload_length 0
		.amdhsa_user_sgpr_kernarg_preload_offset 0
		.amdhsa_user_sgpr_private_segment_size 0
		.amdhsa_uses_dynamic_stack 0
		.amdhsa_system_sgpr_private_segment_wavefront_offset 0
		.amdhsa_system_sgpr_workgroup_id_x 1
		.amdhsa_system_sgpr_workgroup_id_y 0
		.amdhsa_system_sgpr_workgroup_id_z 0
		.amdhsa_system_sgpr_workgroup_info 0
		.amdhsa_system_vgpr_workitem_id 2
		.amdhsa_next_free_vgpr 22
		.amdhsa_next_free_sgpr 14
		.amdhsa_accum_offset 24
		.amdhsa_reserve_vcc 1
		.amdhsa_reserve_flat_scratch 0
		.amdhsa_float_round_mode_32 0
		.amdhsa_float_round_mode_16_64 0
		.amdhsa_float_denorm_mode_32 3
		.amdhsa_float_denorm_mode_16_64 3
		.amdhsa_dx10_clamp 1
		.amdhsa_ieee_mode 1
		.amdhsa_fp16_overflow 0
		.amdhsa_tg_split 0
		.amdhsa_exception_fp_ieee_invalid_op 0
		.amdhsa_exception_fp_denorm_src 0
		.amdhsa_exception_fp_ieee_div_zero 0
		.amdhsa_exception_fp_ieee_overflow 0
		.amdhsa_exception_fp_ieee_underflow 0
		.amdhsa_exception_fp_ieee_inexact 0
		.amdhsa_exception_int_div_zero 0
	.end_amdhsa_kernel
	.section	.text._Z11rank_kernelILj193ELj2ELj4ELb1EL18RadixRankAlgorithm2E6__halfEvPKT4_Pijj,"axG",@progbits,_Z11rank_kernelILj193ELj2ELj4ELb1EL18RadixRankAlgorithm2E6__halfEvPKT4_Pijj,comdat
.Lfunc_end51:
	.size	_Z11rank_kernelILj193ELj2ELj4ELb1EL18RadixRankAlgorithm2E6__halfEvPKT4_Pijj, .Lfunc_end51-_Z11rank_kernelILj193ELj2ELj4ELb1EL18RadixRankAlgorithm2E6__halfEvPKT4_Pijj
                                        ; -- End function
	.section	.AMDGPU.csdata,"",@progbits
; Kernel info:
; codeLenInByte = 1408
; NumSgprs: 18
; NumVgprs: 22
; NumAgprs: 0
; TotalNumVgprs: 22
; ScratchSize: 0
; MemoryBound: 0
; FloatMode: 240
; IeeeMode: 1
; LDSByteSize: 1600 bytes/workgroup (compile time only)
; SGPRBlocks: 2
; VGPRBlocks: 2
; NumSGPRsForWavesPerEU: 18
; NumVGPRsForWavesPerEU: 22
; AccumOffset: 24
; Occupancy: 8
; WaveLimiterHint : 0
; COMPUTE_PGM_RSRC2:SCRATCH_EN: 0
; COMPUTE_PGM_RSRC2:USER_SGPR: 6
; COMPUTE_PGM_RSRC2:TRAP_HANDLER: 0
; COMPUTE_PGM_RSRC2:TGID_X_EN: 1
; COMPUTE_PGM_RSRC2:TGID_Y_EN: 0
; COMPUTE_PGM_RSRC2:TGID_Z_EN: 0
; COMPUTE_PGM_RSRC2:TIDIG_COMP_CNT: 2
; COMPUTE_PGM_RSRC3_GFX90A:ACCUM_OFFSET: 5
; COMPUTE_PGM_RSRC3_GFX90A:TG_SPLIT: 0
	.section	.text._Z11rank_kernelILj162ELj2ELj6ELb1EL18RadixRankAlgorithm2EjEvPKT4_Pijj,"axG",@progbits,_Z11rank_kernelILj162ELj2ELj6ELb1EL18RadixRankAlgorithm2EjEvPKT4_Pijj,comdat
	.protected	_Z11rank_kernelILj162ELj2ELj6ELb1EL18RadixRankAlgorithm2EjEvPKT4_Pijj ; -- Begin function _Z11rank_kernelILj162ELj2ELj6ELb1EL18RadixRankAlgorithm2EjEvPKT4_Pijj
	.globl	_Z11rank_kernelILj162ELj2ELj6ELb1EL18RadixRankAlgorithm2EjEvPKT4_Pijj
	.p2align	8
	.type	_Z11rank_kernelILj162ELj2ELj6ELb1EL18RadixRankAlgorithm2EjEvPKT4_Pijj,@function
_Z11rank_kernelILj162ELj2ELj6ELb1EL18RadixRankAlgorithm2EjEvPKT4_Pijj: ; @_Z11rank_kernelILj162ELj2ELj6ELb1EL18RadixRankAlgorithm2EjEvPKT4_Pijj
; %bb.0:
	s_load_dwordx4 s[0:3], s[4:5], 0x0
	s_load_dwordx2 s[8:9], s[4:5], 0x10
	s_mulk_i32 s6, 0x144
	s_mov_b32 s7, 0
	s_lshl_b64 s[6:7], s[6:7], 2
	v_and_b32_e32 v2, 0x3ff, v0
	s_waitcnt lgkmcnt(0)
	s_add_u32 s0, s0, s6
	s_addc_u32 s1, s1, s7
	v_lshlrev_b32_e32 v3, 3, v2
	global_load_dwordx2 v[16:17], v3, s[0:1]
	s_load_dword s4, s[4:5], 0x24
	v_mbcnt_lo_u32_b32 v1, -1, 0
	s_movk_i32 s0, 0x80
	v_and_b32_e32 v12, 0xc0, v2
	s_movk_i32 s1, 0x180
	v_mbcnt_hi_u32_b32 v7, -1, v1
	v_lshlrev_b32_e32 v6, 1, v2
	v_cmp_eq_u32_e32 vcc, s0, v12
	v_bfe_u32 v1, v0, 10, 10
	v_bfe_u32 v0, v0, 20, 10
	v_add_u32_e32 v5, v7, v12
	v_cndmask_b32_e64 v8, 64, 34, vcc
	v_and_or_b32 v9, v6, s1, v7
	s_waitcnt lgkmcnt(0)
	s_lshr_b32 s0, s4, 16
	v_lshlrev_b32_e32 v10, 1, v5
	v_bfe_u32 v5, v5, 4, 27
	v_lshrrev_b32_e32 v11, 5, v9
	v_add_u32_e32 v13, v9, v8
	s_and_b32 s1, s4, 0xffff
	v_mad_u32_u24 v0, v0, s0, v1
	v_add_lshl_u32 v8, v5, v10, 2
	v_add_lshl_u32 v9, v11, v9, 2
	v_lshrrev_b32_e32 v5, 5, v13
	s_and_b32 s9, s9, 31
	v_mad_u64_u32 v[0:1], s[0:1], v0, s1, v[2:3]
	v_add_lshl_u32 v10, v5, v13, 2
	s_cmp_eq_u32 s9, 0
	v_lshrrev_b32_e32 v14, 6, v0
	s_cselect_b64 s[4:5], -1, 0
	s_and_b32 s0, s8, 31
	s_add_i32 s0, s0, s9
	s_sub_i32 s8, 32, s9
	s_sub_i32 s9, 32, s0
	v_mov_b32_e32 v4, 0
	s_waitcnt vmcnt(0)
	ds_write2_b32 v8, v16, v17 offset1:1
	; wave barrier
	ds_read_b32 v0, v9
	ds_read_b32 v15, v10
	s_waitcnt lgkmcnt(0)
	s_barrier
	v_lshlrev_b32_e32 v0, s9, v0
	v_lshrrev_b32_e32 v0, s8, v0
	v_xor_b32_e32 v0, 63, v0
	v_cndmask_b32_e64 v0, v0, 63, s[4:5]
	v_lshl_add_u32 v1, v0, 1, v0
	v_and_b32_e32 v13, 1, v0
	v_add_lshl_u32 v11, v14, v1, 2
	v_add_co_u32_e32 v1, vcc, -1, v13
	v_lshlrev_b32_e32 v5, 30, v0
	v_addc_co_u32_e64 v16, s[0:1], 0, -1, vcc
	v_cmp_ne_u32_e32 vcc, 0, v13
	v_cmp_gt_i64_e64 s[0:1], 0, v[4:5]
	v_not_b32_e32 v13, v5
	v_lshlrev_b32_e32 v5, 29, v0
	v_xor_b32_e32 v16, vcc_hi, v16
	v_xor_b32_e32 v1, vcc_lo, v1
	v_ashrrev_i32_e32 v13, 31, v13
	v_cmp_gt_i64_e32 vcc, 0, v[4:5]
	v_not_b32_e32 v17, v5
	v_lshlrev_b32_e32 v5, 28, v0
	v_and_b32_e32 v16, exec_hi, v16
	v_and_b32_e32 v1, exec_lo, v1
	v_xor_b32_e32 v18, s1, v13
	v_xor_b32_e32 v13, s0, v13
	v_ashrrev_i32_e32 v17, 31, v17
	v_cmp_gt_i64_e64 s[0:1], 0, v[4:5]
	v_not_b32_e32 v19, v5
	v_lshlrev_b32_e32 v5, 27, v0
	v_and_b32_e32 v16, v16, v18
	v_and_b32_e32 v1, v1, v13
	v_xor_b32_e32 v13, vcc_hi, v17
	v_xor_b32_e32 v17, vcc_lo, v17
	v_ashrrev_i32_e32 v18, 31, v19
	v_cmp_gt_i64_e32 vcc, 0, v[4:5]
	v_not_b32_e32 v5, v5
	v_and_b32_e32 v13, v16, v13
	v_and_b32_e32 v1, v1, v17
	v_xor_b32_e32 v16, s1, v18
	v_xor_b32_e32 v17, s0, v18
	v_ashrrev_i32_e32 v5, 31, v5
	v_and_b32_e32 v13, v13, v16
	v_and_b32_e32 v1, v1, v17
	v_xor_b32_e32 v16, vcc_hi, v5
	v_xor_b32_e32 v5, vcc_lo, v5
	v_and_b32_e32 v13, v13, v16
	v_and_b32_e32 v16, v1, v5
	v_lshlrev_b32_e32 v5, 26, v0
	v_not_b32_e32 v0, v5
	v_cmp_gt_i64_e32 vcc, 0, v[4:5]
	v_ashrrev_i32_e32 v0, 31, v0
	v_xor_b32_e32 v1, vcc_hi, v0
	v_xor_b32_e32 v0, vcc_lo, v0
	v_and_b32_e32 v0, v16, v0
	v_and_b32_e32 v1, v13, v1
	v_mbcnt_lo_u32_b32 v5, v0, 0
	v_mbcnt_hi_u32_b32 v13, v1, v5
	v_cmp_eq_u32_e32 vcc, 0, v13
	v_cmp_ne_u64_e64 s[0:1], 0, v[0:1]
	s_and_b64 s[10:11], s[0:1], vcc
	ds_write2_b32 v3, v4, v4 offset0:3 offset1:4
	s_waitcnt lgkmcnt(0)
	s_barrier
	s_waitcnt lgkmcnt(0)
	; wave barrier
	s_and_saveexec_b64 s[0:1], s[10:11]
	s_cbranch_execz .LBB52_2
; %bb.1:
	v_bcnt_u32_b32 v0, v0, 0
	v_bcnt_u32_b32 v0, v1, v0
	ds_write_b32 v11, v0 offset:12
.LBB52_2:
	s_or_b64 exec, exec, s[0:1]
	v_lshlrev_b32_e32 v0, s9, v15
	v_lshrrev_b32_e32 v0, s8, v0
	v_xor_b32_e32 v0, 63, v0
	v_cndmask_b32_e64 v0, v0, 63, s[4:5]
	v_lshl_add_u32 v1, v0, 1, v0
	v_add_lshl_u32 v15, v14, v1, 2
	v_and_b32_e32 v1, 1, v0
	v_add_co_u32_e32 v5, vcc, -1, v1
	v_addc_co_u32_e64 v16, s[0:1], 0, -1, vcc
	v_cmp_ne_u32_e32 vcc, 0, v1
	v_xor_b32_e32 v5, vcc_lo, v5
	v_xor_b32_e32 v1, vcc_hi, v16
	v_and_b32_e32 v16, exec_lo, v5
	v_lshlrev_b32_e32 v5, 30, v0
	v_cmp_gt_i64_e32 vcc, 0, v[4:5]
	v_not_b32_e32 v5, v5
	v_ashrrev_i32_e32 v5, 31, v5
	v_xor_b32_e32 v17, vcc_hi, v5
	v_xor_b32_e32 v5, vcc_lo, v5
	v_and_b32_e32 v16, v16, v5
	v_lshlrev_b32_e32 v5, 29, v0
	v_cmp_gt_i64_e32 vcc, 0, v[4:5]
	v_not_b32_e32 v5, v5
	v_and_b32_e32 v1, exec_hi, v1
	v_ashrrev_i32_e32 v5, 31, v5
	v_and_b32_e32 v1, v1, v17
	v_xor_b32_e32 v17, vcc_hi, v5
	v_xor_b32_e32 v5, vcc_lo, v5
	v_and_b32_e32 v16, v16, v5
	v_lshlrev_b32_e32 v5, 28, v0
	v_cmp_gt_i64_e32 vcc, 0, v[4:5]
	v_not_b32_e32 v5, v5
	v_ashrrev_i32_e32 v5, 31, v5
	v_and_b32_e32 v1, v1, v17
	v_xor_b32_e32 v17, vcc_hi, v5
	v_xor_b32_e32 v5, vcc_lo, v5
	v_and_b32_e32 v16, v16, v5
	v_lshlrev_b32_e32 v5, 27, v0
	v_cmp_gt_i64_e32 vcc, 0, v[4:5]
	v_not_b32_e32 v5, v5
	v_ashrrev_i32_e32 v5, 31, v5
	v_and_b32_e32 v1, v1, v17
	v_xor_b32_e32 v17, vcc_hi, v5
	v_xor_b32_e32 v5, vcc_lo, v5
	v_and_b32_e32 v16, v16, v5
	v_lshlrev_b32_e32 v5, 26, v0
	v_not_b32_e32 v0, v5
	v_cmp_gt_i64_e32 vcc, 0, v[4:5]
	v_ashrrev_i32_e32 v0, 31, v0
	v_xor_b32_e32 v4, vcc_hi, v0
	v_xor_b32_e32 v0, vcc_lo, v0
	; wave barrier
	ds_read_b32 v14, v15 offset:12
	v_and_b32_e32 v1, v1, v17
	v_and_b32_e32 v0, v16, v0
	v_and_b32_e32 v1, v1, v4
	v_mbcnt_lo_u32_b32 v4, v0, 0
	v_mbcnt_hi_u32_b32 v4, v1, v4
	v_cmp_eq_u32_e32 vcc, 0, v4
	v_cmp_ne_u64_e64 s[0:1], 0, v[0:1]
	s_and_b64 s[4:5], s[0:1], vcc
	; wave barrier
	s_and_saveexec_b64 s[0:1], s[4:5]
	s_cbranch_execz .LBB52_4
; %bb.3:
	v_bcnt_u32_b32 v0, v0, 0
	v_bcnt_u32_b32 v0, v1, v0
	s_waitcnt lgkmcnt(0)
	v_add_u32_e32 v0, v14, v0
	ds_write_b32 v15, v0 offset:12
.LBB52_4:
	s_or_b64 exec, exec, s[0:1]
	; wave barrier
	s_waitcnt lgkmcnt(0)
	s_barrier
	ds_read2_b32 v[0:1], v3 offset0:3 offset1:4
	v_and_b32_e32 v5, 15, v7
	v_cmp_ne_u32_e32 vcc, 0, v5
	v_min_u32_e32 v12, 0x62, v12
	v_add_u32_e32 v12, 63, v12
	s_waitcnt lgkmcnt(0)
	v_add_u32_e32 v1, v1, v0
	s_nop 1
	v_mov_b32_dpp v16, v1 row_shr:1 row_mask:0xf bank_mask:0xf
	v_cndmask_b32_e32 v16, 0, v16, vcc
	v_add_u32_e32 v1, v16, v1
	v_cmp_lt_u32_e32 vcc, 1, v5
	s_nop 0
	v_mov_b32_dpp v16, v1 row_shr:2 row_mask:0xf bank_mask:0xf
	v_cndmask_b32_e32 v16, 0, v16, vcc
	v_add_u32_e32 v1, v1, v16
	v_cmp_lt_u32_e32 vcc, 3, v5
	s_nop 0
	v_mov_b32_dpp v16, v1 row_shr:4 row_mask:0xf bank_mask:0xf
	v_cndmask_b32_e32 v16, 0, v16, vcc
	v_add_u32_e32 v1, v1, v16
	v_cmp_lt_u32_e32 vcc, 7, v5
	s_nop 0
	v_mov_b32_dpp v16, v1 row_shr:8 row_mask:0xf bank_mask:0xf
	v_cndmask_b32_e32 v5, 0, v16, vcc
	v_add_u32_e32 v1, v1, v5
	v_bfe_i32 v16, v7, 4, 1
	v_cmp_lt_u32_e32 vcc, 31, v7
	v_mov_b32_dpp v5, v1 row_bcast:15 row_mask:0xf bank_mask:0xf
	v_and_b32_e32 v5, v16, v5
	v_add_u32_e32 v1, v1, v5
	s_nop 1
	v_mov_b32_dpp v5, v1 row_bcast:31 row_mask:0xf bank_mask:0xf
	v_cndmask_b32_e32 v5, 0, v5, vcc
	v_add_u32_e32 v1, v1, v5
	v_lshrrev_b32_e32 v5, 6, v2
	v_cmp_eq_u32_e32 vcc, v12, v2
	s_and_saveexec_b64 s[0:1], vcc
	s_cbranch_execz .LBB52_6
; %bb.5:
	v_lshlrev_b32_e32 v12, 2, v5
	ds_write_b32 v12, v1
.LBB52_6:
	s_or_b64 exec, exec, s[0:1]
	v_cmp_gt_u32_e32 vcc, 3, v2
	s_waitcnt lgkmcnt(0)
	s_barrier
	s_and_saveexec_b64 s[0:1], vcc
	s_cbranch_execz .LBB52_8
; %bb.7:
	v_lshlrev_b32_e32 v12, 2, v2
	ds_read_b32 v16, v12
	v_and_b32_e32 v17, 3, v7
	v_cmp_ne_u32_e32 vcc, 0, v17
	s_waitcnt lgkmcnt(0)
	v_mov_b32_dpp v18, v16 row_shr:1 row_mask:0xf bank_mask:0xf
	v_cndmask_b32_e32 v18, 0, v18, vcc
	v_add_u32_e32 v16, v18, v16
	v_cmp_lt_u32_e32 vcc, 1, v17
	s_nop 0
	v_mov_b32_dpp v18, v16 row_shr:2 row_mask:0xf bank_mask:0xf
	v_cndmask_b32_e32 v17, 0, v18, vcc
	v_add_u32_e32 v16, v16, v17
	ds_write_b32 v12, v16
.LBB52_8:
	s_or_b64 exec, exec, s[0:1]
	v_cmp_lt_u32_e32 vcc, 63, v2
	v_mov_b32_e32 v12, 0
	s_waitcnt lgkmcnt(0)
	s_barrier
	s_and_saveexec_b64 s[0:1], vcc
	s_cbranch_execz .LBB52_10
; %bb.9:
	v_lshl_add_u32 v5, v5, 2, -4
	ds_read_b32 v12, v5
.LBB52_10:
	s_or_b64 exec, exec, s[0:1]
	v_add_u32_e32 v5, -1, v7
	v_and_b32_e32 v16, 64, v7
	v_cmp_lt_i32_e32 vcc, v5, v16
	v_cndmask_b32_e32 v5, v5, v7, vcc
	s_waitcnt lgkmcnt(0)
	v_add_u32_e32 v1, v12, v1
	v_lshlrev_b32_e32 v5, 2, v5
	ds_bpermute_b32 v1, v5, v1
	v_cmp_eq_u32_e32 vcc, 0, v7
	s_add_u32 s0, s2, s6
	s_addc_u32 s1, s3, s7
	s_waitcnt lgkmcnt(0)
	v_cndmask_b32_e32 v1, v1, v12, vcc
	v_cmp_ne_u32_e32 vcc, 0, v2
	v_cndmask_b32_e32 v1, 0, v1, vcc
	v_add_u32_e32 v0, v1, v0
	ds_write2_b32 v3, v1, v0 offset0:3 offset1:4
	s_waitcnt lgkmcnt(0)
	s_barrier
	ds_read_b32 v0, v11 offset:12
	ds_read_b32 v1, v15 offset:12
	s_waitcnt lgkmcnt(0)
	s_barrier
	v_add_u32_e32 v0, v0, v13
	v_add3_u32 v1, v4, v14, v1
	ds_write_b32 v9, v0
	ds_write_b32 v10, v1
	; wave barrier
	ds_read2_b32 v[0:1], v8 offset1:1
	v_lshlrev_b32_e32 v2, 2, v6
	s_waitcnt lgkmcnt(0)
	global_store_dwordx2 v2, v[0:1], s[0:1]
	s_endpgm
	.section	.rodata,"a",@progbits
	.p2align	6, 0x0
	.amdhsa_kernel _Z11rank_kernelILj162ELj2ELj6ELb1EL18RadixRankAlgorithm2EjEvPKT4_Pijj
		.amdhsa_group_segment_fixed_size 1344
		.amdhsa_private_segment_fixed_size 0
		.amdhsa_kernarg_size 280
		.amdhsa_user_sgpr_count 6
		.amdhsa_user_sgpr_private_segment_buffer 1
		.amdhsa_user_sgpr_dispatch_ptr 0
		.amdhsa_user_sgpr_queue_ptr 0
		.amdhsa_user_sgpr_kernarg_segment_ptr 1
		.amdhsa_user_sgpr_dispatch_id 0
		.amdhsa_user_sgpr_flat_scratch_init 0
		.amdhsa_user_sgpr_kernarg_preload_length 0
		.amdhsa_user_sgpr_kernarg_preload_offset 0
		.amdhsa_user_sgpr_private_segment_size 0
		.amdhsa_uses_dynamic_stack 0
		.amdhsa_system_sgpr_private_segment_wavefront_offset 0
		.amdhsa_system_sgpr_workgroup_id_x 1
		.amdhsa_system_sgpr_workgroup_id_y 0
		.amdhsa_system_sgpr_workgroup_id_z 0
		.amdhsa_system_sgpr_workgroup_info 0
		.amdhsa_system_vgpr_workitem_id 2
		.amdhsa_next_free_vgpr 20
		.amdhsa_next_free_sgpr 12
		.amdhsa_accum_offset 20
		.amdhsa_reserve_vcc 1
		.amdhsa_reserve_flat_scratch 0
		.amdhsa_float_round_mode_32 0
		.amdhsa_float_round_mode_16_64 0
		.amdhsa_float_denorm_mode_32 3
		.amdhsa_float_denorm_mode_16_64 3
		.amdhsa_dx10_clamp 1
		.amdhsa_ieee_mode 1
		.amdhsa_fp16_overflow 0
		.amdhsa_tg_split 0
		.amdhsa_exception_fp_ieee_invalid_op 0
		.amdhsa_exception_fp_denorm_src 0
		.amdhsa_exception_fp_ieee_div_zero 0
		.amdhsa_exception_fp_ieee_overflow 0
		.amdhsa_exception_fp_ieee_underflow 0
		.amdhsa_exception_fp_ieee_inexact 0
		.amdhsa_exception_int_div_zero 0
	.end_amdhsa_kernel
	.section	.text._Z11rank_kernelILj162ELj2ELj6ELb1EL18RadixRankAlgorithm2EjEvPKT4_Pijj,"axG",@progbits,_Z11rank_kernelILj162ELj2ELj6ELb1EL18RadixRankAlgorithm2EjEvPKT4_Pijj,comdat
.Lfunc_end52:
	.size	_Z11rank_kernelILj162ELj2ELj6ELb1EL18RadixRankAlgorithm2EjEvPKT4_Pijj, .Lfunc_end52-_Z11rank_kernelILj162ELj2ELj6ELb1EL18RadixRankAlgorithm2EjEvPKT4_Pijj
                                        ; -- End function
	.section	.AMDGPU.csdata,"",@progbits
; Kernel info:
; codeLenInByte = 1460
; NumSgprs: 16
; NumVgprs: 20
; NumAgprs: 0
; TotalNumVgprs: 20
; ScratchSize: 0
; MemoryBound: 0
; FloatMode: 240
; IeeeMode: 1
; LDSByteSize: 1344 bytes/workgroup (compile time only)
; SGPRBlocks: 1
; VGPRBlocks: 2
; NumSGPRsForWavesPerEU: 16
; NumVGPRsForWavesPerEU: 20
; AccumOffset: 20
; Occupancy: 8
; WaveLimiterHint : 0
; COMPUTE_PGM_RSRC2:SCRATCH_EN: 0
; COMPUTE_PGM_RSRC2:USER_SGPR: 6
; COMPUTE_PGM_RSRC2:TRAP_HANDLER: 0
; COMPUTE_PGM_RSRC2:TGID_X_EN: 1
; COMPUTE_PGM_RSRC2:TGID_Y_EN: 0
; COMPUTE_PGM_RSRC2:TGID_Z_EN: 0
; COMPUTE_PGM_RSRC2:TIDIG_COMP_CNT: 2
; COMPUTE_PGM_RSRC3_GFX90A:ACCUM_OFFSET: 4
; COMPUTE_PGM_RSRC3_GFX90A:TG_SPLIT: 0
	.section	.text._Z11rank_kernelILj60ELj1ELj3ELb1EL18RadixRankAlgorithm2EfEvPKT4_Pijj,"axG",@progbits,_Z11rank_kernelILj60ELj1ELj3ELb1EL18RadixRankAlgorithm2EfEvPKT4_Pijj,comdat
	.protected	_Z11rank_kernelILj60ELj1ELj3ELb1EL18RadixRankAlgorithm2EfEvPKT4_Pijj ; -- Begin function _Z11rank_kernelILj60ELj1ELj3ELb1EL18RadixRankAlgorithm2EfEvPKT4_Pijj
	.globl	_Z11rank_kernelILj60ELj1ELj3ELb1EL18RadixRankAlgorithm2EfEvPKT4_Pijj
	.p2align	8
	.type	_Z11rank_kernelILj60ELj1ELj3ELb1EL18RadixRankAlgorithm2EfEvPKT4_Pijj,@function
_Z11rank_kernelILj60ELj1ELj3ELb1EL18RadixRankAlgorithm2EfEvPKT4_Pijj: ; @_Z11rank_kernelILj60ELj1ELj3ELb1EL18RadixRankAlgorithm2EfEvPKT4_Pijj
; %bb.0:
	s_load_dwordx4 s[0:3], s[4:5], 0x0
	s_load_dwordx2 s[8:9], s[4:5], 0x10
	s_mul_i32 s6, s6, 60
	s_mov_b32 s7, 0
	s_lshl_b64 s[6:7], s[6:7], 2
	s_waitcnt lgkmcnt(0)
	s_add_u32 s0, s0, s6
	v_and_b32_e32 v2, 0x3ff, v0
	s_addc_u32 s1, s1, s7
	v_lshlrev_b32_e32 v3, 2, v2
	global_load_dword v6, v3, s[0:1]
	s_load_dword s0, s[4:5], 0x24
	v_mbcnt_lo_u32_b32 v1, -1, 0
	v_mbcnt_hi_u32_b32 v5, -1, v1
	v_bfe_u32 v1, v0, 10, 10
	v_bfe_u32 v0, v0, 20, 10
	s_waitcnt lgkmcnt(0)
	s_lshr_b32 s1, s0, 16
	s_and_b32 s0, s0, 0xffff
	v_mad_u32_u24 v0, v0, s1, v1
	v_lshlrev_b32_e32 v4, 2, v5
	v_mad_u64_u32 v[0:1], s[0:1], v0, s0, v[2:3]
	v_bfrev_b32_e32 v7, 1
	s_brev_b32 s10, -2
	s_and_b32 s4, s9, 31
	s_and_b32 s5, s8, 31
	s_add_i32 s5, s5, s4
	s_sub_i32 s0, 32, s5
	s_sub_i32 s8, 32, s4
	s_cmp_lg_u32 s4, 0
	v_lshrrev_b32_e32 v0, 6, v0
	v_mov_b32_e32 v8, 0
	s_waitcnt vmcnt(0)
	ds_write_b32 v4, v6
	; wave barrier
	ds_read_b32 v1, v4
	s_waitcnt lgkmcnt(0)
	; wave barrier
	s_waitcnt lgkmcnt(0)
	ds_write_b32 v3, v8 offset:4
	s_waitcnt lgkmcnt(0)
	v_cmp_lt_i32_e32 vcc, -1, v1
	v_cndmask_b32_e32 v6, -1, v7, vcc
	v_xor_b32_e32 v1, v6, v1
	v_cmp_ne_u32_e32 vcc, s10, v1
	v_cndmask_b32_e32 v1, v7, v1, vcc
	v_lshlrev_b32_e32 v1, s0, v1
	v_lshrrev_b32_e32 v1, s8, v1
	v_xor_b32_e32 v1, 7, v1
	s_cselect_b64 vcc, -1, 0
	v_cndmask_b32_e32 v1, 7, v1, vcc
	v_add_lshl_u32 v6, v0, v1, 2
	v_and_b32_e32 v0, 1, v1
	v_add_co_u32_e32 v7, vcc, -1, v0
	v_lshlrev_b32_e32 v9, 30, v1
	v_addc_co_u32_e64 v10, s[0:1], 0, -1, vcc
	v_cmp_ne_u32_e32 vcc, 0, v0
	v_cmp_gt_i64_e64 s[0:1], 0, v[8:9]
	v_not_b32_e32 v0, v9
	v_lshlrev_b32_e32 v9, 29, v1
	v_xor_b32_e32 v1, vcc_hi, v10
	v_xor_b32_e32 v7, vcc_lo, v7
	v_ashrrev_i32_e32 v0, 31, v0
	v_cmp_gt_i64_e32 vcc, 0, v[8:9]
	v_not_b32_e32 v8, v9
	v_and_b32_e32 v7, exec_lo, v7
	v_xor_b32_e32 v9, s1, v0
	v_xor_b32_e32 v0, s0, v0
	v_ashrrev_i32_e32 v8, 31, v8
	v_and_b32_e32 v1, exec_hi, v1
	v_and_b32_e32 v0, v7, v0
	v_xor_b32_e32 v7, vcc_hi, v8
	v_xor_b32_e32 v8, vcc_lo, v8
	v_and_b32_e32 v1, v1, v9
	v_and_b32_e32 v0, v0, v8
	;; [unrolled: 1-line block ×3, first 2 shown]
	v_mbcnt_lo_u32_b32 v7, v0, 0
	v_mbcnt_hi_u32_b32 v7, v1, v7
	v_cmp_eq_u32_e32 vcc, 0, v7
	v_cmp_ne_u64_e64 s[0:1], 0, v[0:1]
	s_and_b64 s[4:5], s[0:1], vcc
	; wave barrier
	s_waitcnt lgkmcnt(0)
	; wave barrier
	s_and_saveexec_b64 s[0:1], s[4:5]
	s_cbranch_execz .LBB53_2
; %bb.1:
	v_bcnt_u32_b32 v0, v0, 0
	v_bcnt_u32_b32 v0, v1, v0
	ds_write_b32 v6, v0 offset:4
.LBB53_2:
	s_or_b64 exec, exec, s[0:1]
	; wave barrier
	s_waitcnt lgkmcnt(0)
	; wave barrier
	s_waitcnt lgkmcnt(0)
	ds_read_b32 v0, v3 offset:4
	v_and_b32_e32 v1, 15, v5
	v_cmp_ne_u32_e32 vcc, 0, v1
	s_waitcnt lgkmcnt(0)
	v_mov_b32_dpp v8, v0 row_shr:1 row_mask:0xf bank_mask:0xf
	v_cndmask_b32_e32 v8, 0, v8, vcc
	v_add_u32_e32 v0, v8, v0
	v_cmp_lt_u32_e32 vcc, 1, v1
	s_nop 0
	v_mov_b32_dpp v8, v0 row_shr:2 row_mask:0xf bank_mask:0xf
	v_cndmask_b32_e32 v8, 0, v8, vcc
	v_add_u32_e32 v0, v0, v8
	v_cmp_lt_u32_e32 vcc, 3, v1
	s_nop 0
	;; [unrolled: 5-line block ×3, first 2 shown]
	v_mov_b32_dpp v8, v0 row_shr:8 row_mask:0xf bank_mask:0xf
	v_cndmask_b32_e32 v1, 0, v8, vcc
	v_add_u32_e32 v0, v0, v1
	v_bfe_i32 v8, v5, 4, 1
	v_cmp_lt_u32_e32 vcc, 31, v5
	v_mov_b32_dpp v1, v0 row_bcast:15 row_mask:0xf bank_mask:0xf
	v_and_b32_e32 v1, v8, v1
	v_add_u32_e32 v0, v0, v1
	s_nop 1
	v_mov_b32_dpp v1, v0 row_bcast:31 row_mask:0xf bank_mask:0xf
	v_cndmask_b32_e32 v1, 0, v1, vcc
	v_add_u32_e32 v0, v0, v1
	v_cmp_eq_u32_e32 vcc, 59, v2
	s_and_saveexec_b64 s[0:1], vcc
	s_cbranch_execz .LBB53_4
; %bb.3:
	v_mov_b32_e32 v1, 0
	ds_write_b32 v1, v0
.LBB53_4:
	s_or_b64 exec, exec, s[0:1]
	v_add_u32_e32 v1, -1, v5
	v_and_b32_e32 v2, 64, v5
	v_cmp_lt_i32_e32 vcc, v1, v2
	v_cndmask_b32_e32 v1, v1, v5, vcc
	v_lshlrev_b32_e32 v1, 2, v1
	ds_bpermute_b32 v0, v1, v0
	v_cmp_ne_u32_e32 vcc, 0, v5
	s_waitcnt lgkmcnt(0)
	; wave barrier
	s_waitcnt lgkmcnt(0)
	s_add_u32 s0, s2, s6
	v_cndmask_b32_e32 v0, 0, v0, vcc
	ds_write_b32 v3, v0 offset:4
	s_waitcnt lgkmcnt(0)
	; wave barrier
	s_waitcnt lgkmcnt(0)
	ds_read_b32 v0, v6 offset:4
	s_waitcnt lgkmcnt(0)
	; wave barrier
	s_waitcnt lgkmcnt(0)
	s_addc_u32 s1, s3, s7
	v_add_u32_e32 v0, v0, v7
	ds_write_b32 v4, v0
	; wave barrier
	ds_read_b32 v0, v4
	s_waitcnt lgkmcnt(0)
	global_store_dword v3, v0, s[0:1]
	s_endpgm
	.section	.rodata,"a",@progbits
	.p2align	6, 0x0
	.amdhsa_kernel _Z11rank_kernelILj60ELj1ELj3ELb1EL18RadixRankAlgorithm2EfEvPKT4_Pijj
		.amdhsa_group_segment_fixed_size 256
		.amdhsa_private_segment_fixed_size 0
		.amdhsa_kernarg_size 280
		.amdhsa_user_sgpr_count 6
		.amdhsa_user_sgpr_private_segment_buffer 1
		.amdhsa_user_sgpr_dispatch_ptr 0
		.amdhsa_user_sgpr_queue_ptr 0
		.amdhsa_user_sgpr_kernarg_segment_ptr 1
		.amdhsa_user_sgpr_dispatch_id 0
		.amdhsa_user_sgpr_flat_scratch_init 0
		.amdhsa_user_sgpr_kernarg_preload_length 0
		.amdhsa_user_sgpr_kernarg_preload_offset 0
		.amdhsa_user_sgpr_private_segment_size 0
		.amdhsa_uses_dynamic_stack 0
		.amdhsa_system_sgpr_private_segment_wavefront_offset 0
		.amdhsa_system_sgpr_workgroup_id_x 1
		.amdhsa_system_sgpr_workgroup_id_y 0
		.amdhsa_system_sgpr_workgroup_id_z 0
		.amdhsa_system_sgpr_workgroup_info 0
		.amdhsa_system_vgpr_workitem_id 2
		.amdhsa_next_free_vgpr 11
		.amdhsa_next_free_sgpr 11
		.amdhsa_accum_offset 12
		.amdhsa_reserve_vcc 1
		.amdhsa_reserve_flat_scratch 0
		.amdhsa_float_round_mode_32 0
		.amdhsa_float_round_mode_16_64 0
		.amdhsa_float_denorm_mode_32 3
		.amdhsa_float_denorm_mode_16_64 3
		.amdhsa_dx10_clamp 1
		.amdhsa_ieee_mode 1
		.amdhsa_fp16_overflow 0
		.amdhsa_tg_split 0
		.amdhsa_exception_fp_ieee_invalid_op 0
		.amdhsa_exception_fp_denorm_src 0
		.amdhsa_exception_fp_ieee_div_zero 0
		.amdhsa_exception_fp_ieee_overflow 0
		.amdhsa_exception_fp_ieee_underflow 0
		.amdhsa_exception_fp_ieee_inexact 0
		.amdhsa_exception_int_div_zero 0
	.end_amdhsa_kernel
	.section	.text._Z11rank_kernelILj60ELj1ELj3ELb1EL18RadixRankAlgorithm2EfEvPKT4_Pijj,"axG",@progbits,_Z11rank_kernelILj60ELj1ELj3ELb1EL18RadixRankAlgorithm2EfEvPKT4_Pijj,comdat
.Lfunc_end53:
	.size	_Z11rank_kernelILj60ELj1ELj3ELb1EL18RadixRankAlgorithm2EfEvPKT4_Pijj, .Lfunc_end53-_Z11rank_kernelILj60ELj1ELj3ELb1EL18RadixRankAlgorithm2EfEvPKT4_Pijj
                                        ; -- End function
	.section	.AMDGPU.csdata,"",@progbits
; Kernel info:
; codeLenInByte = 752
; NumSgprs: 15
; NumVgprs: 11
; NumAgprs: 0
; TotalNumVgprs: 11
; ScratchSize: 0
; MemoryBound: 0
; FloatMode: 240
; IeeeMode: 1
; LDSByteSize: 256 bytes/workgroup (compile time only)
; SGPRBlocks: 1
; VGPRBlocks: 1
; NumSGPRsForWavesPerEU: 15
; NumVGPRsForWavesPerEU: 11
; AccumOffset: 12
; Occupancy: 8
; WaveLimiterHint : 0
; COMPUTE_PGM_RSRC2:SCRATCH_EN: 0
; COMPUTE_PGM_RSRC2:USER_SGPR: 6
; COMPUTE_PGM_RSRC2:TRAP_HANDLER: 0
; COMPUTE_PGM_RSRC2:TGID_X_EN: 1
; COMPUTE_PGM_RSRC2:TGID_Y_EN: 0
; COMPUTE_PGM_RSRC2:TGID_Z_EN: 0
; COMPUTE_PGM_RSRC2:TIDIG_COMP_CNT: 2
; COMPUTE_PGM_RSRC3_GFX90A:ACCUM_OFFSET: 2
; COMPUTE_PGM_RSRC3_GFX90A:TG_SPLIT: 0
	.section	.text._Z11rank_kernelILj102ELj3ELj3ELb1EL18RadixRankAlgorithm2EtEvPKT4_Pijj,"axG",@progbits,_Z11rank_kernelILj102ELj3ELj3ELb1EL18RadixRankAlgorithm2EtEvPKT4_Pijj,comdat
	.protected	_Z11rank_kernelILj102ELj3ELj3ELb1EL18RadixRankAlgorithm2EtEvPKT4_Pijj ; -- Begin function _Z11rank_kernelILj102ELj3ELj3ELb1EL18RadixRankAlgorithm2EtEvPKT4_Pijj
	.globl	_Z11rank_kernelILj102ELj3ELj3ELb1EL18RadixRankAlgorithm2EtEvPKT4_Pijj
	.p2align	8
	.type	_Z11rank_kernelILj102ELj3ELj3ELb1EL18RadixRankAlgorithm2EtEvPKT4_Pijj,@function
_Z11rank_kernelILj102ELj3ELj3ELb1EL18RadixRankAlgorithm2EtEvPKT4_Pijj: ; @_Z11rank_kernelILj102ELj3ELj3ELb1EL18RadixRankAlgorithm2EtEvPKT4_Pijj
; %bb.0:
	s_load_dwordx4 s[0:3], s[4:5], 0x0
	s_load_dwordx2 s[8:9], s[4:5], 0x10
	s_mulk_i32 s6, 0x132
	s_mov_b32 s7, 0
	v_and_b32_e32 v2, 0x3ff, v0
	s_lshl_b64 s[10:11], s[6:7], 1
	s_waitcnt lgkmcnt(0)
	s_add_u32 s0, s0, s10
	v_mul_u32_u24_e32 v3, 3, v2
	s_addc_u32 s1, s1, s11
	v_lshlrev_b32_e32 v1, 1, v3
	global_load_dword v5, v1, s[0:1]
	global_load_ushort v13, v1, s[0:1] offset:4
	s_load_dword s1, s[4:5], 0x24
	v_mbcnt_lo_u32_b32 v1, -1, 0
	v_and_b32_e32 v12, 64, v2
	s_movk_i32 s0, 0xc0
	v_mbcnt_hi_u32_b32 v6, -1, v1
	v_lshrrev_b32_e32 v11, 6, v2
	v_cmp_ne_u32_e32 vcc, 0, v12
	v_bfe_u32 v1, v0, 10, 10
	v_bfe_u32 v0, v0, 20, 10
	v_mul_u32_u24_e32 v7, 0xc0, v11
	v_cndmask_b32_e64 v8, 64, 38, vcc
	v_mad_u32_u24 v9, v11, s0, v6
	s_waitcnt lgkmcnt(0)
	s_lshr_b32 s0, s1, 16
	v_mad_u32_u24 v7, v6, 3, v7
	v_lshlrev_b32_e32 v14, 1, v9
	v_lshlrev_b32_e32 v15, 1, v8
	s_and_b32 s1, s1, 0xffff
	s_and_b32 s9, s9, 31
	v_mad_u32_u24 v0, v0, s0, v1
	v_lshlrev_b32_e32 v16, 1, v7
	v_add_u32_e32 v18, v14, v15
	s_cmp_eq_u32 s9, 0
	v_mad_u64_u32 v[0:1], s[0:1], v0, s1, v[2:3]
	v_add_u32_e32 v19, v18, v15
	s_cselect_b64 s[4:5], -1, 0
	s_and_b32 s0, s8, 31
	v_lshrrev_b32_e32 v17, 6, v0
	s_add_i32 s0, s0, s9
	s_sub_i32 s8, 32, s9
	s_sub_i32 s9, 32, s0
	v_mov_b32_e32 v4, 0
	v_lshlrev_b32_e32 v10, 2, v2
	s_waitcnt vmcnt(1)
	ds_write_b16 v16, v5
	ds_write_b16_d16_hi v16, v5 offset:2
	s_waitcnt vmcnt(0)
	ds_write_b16 v16, v13 offset:4
	; wave barrier
	ds_read_u16 v0, v14
	ds_read_u16 v15, v18
	;; [unrolled: 1-line block ×3, first 2 shown]
	s_waitcnt lgkmcnt(0)
	s_barrier
	v_lshlrev_b32_e32 v0, s9, v0
	v_bfe_u32 v0, v0, s8, 16
	v_xor_b32_e32 v0, 7, v0
	v_cndmask_b32_e64 v0, v0, 7, s[4:5]
	v_mul_u32_u24_e32 v1, 3, v0
	v_and_b32_e32 v14, 1, v0
	v_add_lshl_u32 v13, v17, v1, 2
	v_add_co_u32_e32 v1, vcc, -1, v14
	v_lshlrev_b32_e32 v5, 30, v0
	v_addc_co_u32_e64 v16, s[0:1], 0, -1, vcc
	v_cmp_ne_u32_e32 vcc, 0, v14
	v_cmp_gt_i64_e64 s[0:1], 0, v[4:5]
	v_not_b32_e32 v14, v5
	v_lshlrev_b32_e32 v5, 29, v0
	v_xor_b32_e32 v0, vcc_hi, v16
	v_xor_b32_e32 v1, vcc_lo, v1
	v_ashrrev_i32_e32 v14, 31, v14
	v_cmp_gt_i64_e32 vcc, 0, v[4:5]
	v_not_b32_e32 v5, v5
	v_and_b32_e32 v0, exec_hi, v0
	v_and_b32_e32 v1, exec_lo, v1
	v_xor_b32_e32 v16, s1, v14
	v_xor_b32_e32 v14, s0, v14
	v_ashrrev_i32_e32 v5, 31, v5
	v_and_b32_e32 v0, v0, v16
	v_and_b32_e32 v14, v1, v14
	v_xor_b32_e32 v1, vcc_hi, v5
	v_xor_b32_e32 v5, vcc_lo, v5
	v_and_b32_e32 v1, v0, v1
	v_and_b32_e32 v0, v14, v5
	v_mbcnt_lo_u32_b32 v5, v0, 0
	v_mbcnt_hi_u32_b32 v14, v1, v5
	v_cmp_eq_u32_e32 vcc, 0, v14
	v_cmp_ne_u64_e64 s[0:1], 0, v[0:1]
	s_and_b64 s[10:11], s[0:1], vcc
	ds_write_b32 v10, v4 offset:8
	s_waitcnt lgkmcnt(0)
	s_barrier
	s_waitcnt lgkmcnt(0)
	; wave barrier
	s_and_saveexec_b64 s[0:1], s[10:11]
	s_cbranch_execz .LBB54_2
; %bb.1:
	v_bcnt_u32_b32 v0, v0, 0
	v_bcnt_u32_b32 v0, v1, v0
	ds_write_b32 v13, v0 offset:8
.LBB54_2:
	s_or_b64 exec, exec, s[0:1]
	v_lshlrev_b32_sdwa v0, s9, v15 dst_sel:DWORD dst_unused:UNUSED_PAD src0_sel:DWORD src1_sel:WORD_0
	v_bfe_u32 v0, v0, s8, 16
	v_xor_b32_e32 v0, 7, v0
	v_cndmask_b32_e64 v0, v0, 7, s[4:5]
	v_mul_u32_u24_e32 v1, 3, v0
	v_add_lshl_u32 v16, v17, v1, 2
	v_and_b32_e32 v1, 1, v0
	v_add_co_u32_e32 v5, vcc, -1, v1
	v_addc_co_u32_e64 v19, s[0:1], 0, -1, vcc
	v_cmp_ne_u32_e32 vcc, 0, v1
	v_xor_b32_e32 v5, vcc_lo, v5
	v_xor_b32_e32 v1, vcc_hi, v19
	v_and_b32_e32 v19, exec_lo, v5
	v_lshlrev_b32_e32 v5, 30, v0
	v_cmp_gt_i64_e32 vcc, 0, v[4:5]
	v_not_b32_e32 v5, v5
	v_ashrrev_i32_e32 v5, 31, v5
	v_xor_b32_e32 v20, vcc_hi, v5
	v_xor_b32_e32 v5, vcc_lo, v5
	v_and_b32_e32 v19, v19, v5
	v_lshlrev_b32_e32 v5, 29, v0
	v_not_b32_e32 v0, v5
	v_cmp_gt_i64_e32 vcc, 0, v[4:5]
	v_ashrrev_i32_e32 v0, 31, v0
	v_and_b32_e32 v1, exec_hi, v1
	v_xor_b32_e32 v4, vcc_hi, v0
	v_xor_b32_e32 v0, vcc_lo, v0
	; wave barrier
	ds_read_b32 v15, v16 offset:8
	v_and_b32_e32 v1, v1, v20
	v_and_b32_e32 v0, v19, v0
	;; [unrolled: 1-line block ×3, first 2 shown]
	v_mbcnt_lo_u32_b32 v4, v0, 0
	v_mbcnt_hi_u32_b32 v4, v1, v4
	v_cmp_eq_u32_e32 vcc, 0, v4
	v_cmp_ne_u64_e64 s[0:1], 0, v[0:1]
	s_and_b64 s[10:11], s[0:1], vcc
	; wave barrier
	s_and_saveexec_b64 s[0:1], s[10:11]
	s_cbranch_execz .LBB54_4
; %bb.3:
	v_bcnt_u32_b32 v0, v0, 0
	v_bcnt_u32_b32 v0, v1, v0
	s_waitcnt lgkmcnt(0)
	v_add_u32_e32 v0, v15, v0
	ds_write_b32 v16, v0 offset:8
.LBB54_4:
	s_or_b64 exec, exec, s[0:1]
	v_lshlrev_b32_sdwa v0, s9, v18 dst_sel:DWORD dst_unused:UNUSED_PAD src0_sel:DWORD src1_sel:WORD_0
	v_bfe_u32 v0, v0, s8, 16
	v_xor_b32_e32 v0, 7, v0
	v_cndmask_b32_e64 v18, v0, 7, s[4:5]
	v_and_b32_e32 v1, 1, v18
	v_add_co_u32_e32 v19, vcc, -1, v1
	v_addc_co_u32_e64 v20, s[0:1], 0, -1, vcc
	v_cmp_ne_u32_e32 vcc, 0, v1
	v_mul_u32_u24_e32 v0, 3, v18
	v_xor_b32_e32 v1, vcc_hi, v20
	v_add_lshl_u32 v17, v17, v0, 2
	v_mov_b32_e32 v0, 0
	v_and_b32_e32 v20, exec_hi, v1
	v_lshlrev_b32_e32 v1, 30, v18
	v_xor_b32_e32 v19, vcc_lo, v19
	v_cmp_gt_i64_e32 vcc, 0, v[0:1]
	v_not_b32_e32 v1, v1
	v_ashrrev_i32_e32 v1, 31, v1
	v_and_b32_e32 v19, exec_lo, v19
	v_xor_b32_e32 v21, vcc_hi, v1
	v_xor_b32_e32 v1, vcc_lo, v1
	v_and_b32_e32 v19, v19, v1
	v_lshlrev_b32_e32 v1, 29, v18
	v_cmp_gt_i64_e32 vcc, 0, v[0:1]
	v_not_b32_e32 v0, v1
	v_ashrrev_i32_e32 v0, 31, v0
	v_xor_b32_e32 v1, vcc_hi, v0
	v_xor_b32_e32 v0, vcc_lo, v0
	; wave barrier
	ds_read_b32 v5, v17 offset:8
	v_and_b32_e32 v20, v20, v21
	v_and_b32_e32 v0, v19, v0
	;; [unrolled: 1-line block ×3, first 2 shown]
	v_mbcnt_lo_u32_b32 v18, v0, 0
	v_mbcnt_hi_u32_b32 v18, v1, v18
	v_cmp_eq_u32_e32 vcc, 0, v18
	v_cmp_ne_u64_e64 s[0:1], 0, v[0:1]
	s_and_b64 s[4:5], s[0:1], vcc
	; wave barrier
	s_and_saveexec_b64 s[0:1], s[4:5]
	s_cbranch_execz .LBB54_6
; %bb.5:
	v_bcnt_u32_b32 v0, v0, 0
	v_bcnt_u32_b32 v0, v1, v0
	s_waitcnt lgkmcnt(0)
	v_add_u32_e32 v0, v5, v0
	ds_write_b32 v17, v0 offset:8
.LBB54_6:
	s_or_b64 exec, exec, s[0:1]
	; wave barrier
	s_waitcnt lgkmcnt(0)
	s_barrier
	ds_read_b32 v0, v10 offset:8
	v_and_b32_e32 v1, 15, v6
	v_cmp_ne_u32_e32 vcc, 0, v1
	s_waitcnt lgkmcnt(0)
	v_mov_b32_dpp v19, v0 row_shr:1 row_mask:0xf bank_mask:0xf
	v_cndmask_b32_e32 v19, 0, v19, vcc
	v_add_u32_e32 v0, v19, v0
	v_cmp_lt_u32_e32 vcc, 1, v1
	s_nop 0
	v_mov_b32_dpp v19, v0 row_shr:2 row_mask:0xf bank_mask:0xf
	v_cndmask_b32_e32 v19, 0, v19, vcc
	v_add_u32_e32 v0, v0, v19
	v_cmp_lt_u32_e32 vcc, 3, v1
	s_nop 0
	;; [unrolled: 5-line block ×3, first 2 shown]
	v_mov_b32_dpp v19, v0 row_shr:8 row_mask:0xf bank_mask:0xf
	v_cndmask_b32_e32 v1, 0, v19, vcc
	v_add_u32_e32 v0, v0, v1
	v_bfe_i32 v19, v6, 4, 1
	v_cmp_lt_u32_e32 vcc, 31, v6
	v_mov_b32_dpp v1, v0 row_bcast:15 row_mask:0xf bank_mask:0xf
	v_and_b32_e32 v1, v19, v1
	v_add_u32_e32 v0, v0, v1
	s_nop 1
	v_mov_b32_dpp v1, v0 row_bcast:31 row_mask:0xf bank_mask:0xf
	v_cndmask_b32_e32 v1, 0, v1, vcc
	v_add_u32_e32 v0, v0, v1
	v_min_u32_e32 v1, 38, v12
	v_add_u32_e32 v1, 63, v1
	v_cmp_eq_u32_e32 vcc, v1, v2
	s_and_saveexec_b64 s[0:1], vcc
	s_xor_b64 s[0:1], exec, s[0:1]
	s_cbranch_execz .LBB54_8
; %bb.7:
	v_lshlrev_b32_e32 v1, 2, v11
	ds_write_b32 v1, v0
.LBB54_8:
	s_or_b64 exec, exec, s[0:1]
	v_cmp_gt_u32_e32 vcc, 2, v2
	s_waitcnt lgkmcnt(0)
	s_barrier
	s_and_saveexec_b64 s[0:1], vcc
	s_cbranch_execz .LBB54_10
; %bb.9:
	ds_read_b32 v1, v10
	v_bfe_i32 v12, v6, 0, 1
	s_waitcnt lgkmcnt(0)
	v_mov_b32_dpp v19, v1 row_shr:1 row_mask:0xf bank_mask:0xf
	v_and_b32_e32 v12, v12, v19
	v_add_u32_e32 v1, v12, v1
	ds_write_b32 v10, v1
.LBB54_10:
	s_or_b64 exec, exec, s[0:1]
	v_cmp_lt_u32_e32 vcc, 63, v2
	v_mov_b32_e32 v1, 0
	s_waitcnt lgkmcnt(0)
	s_barrier
	s_and_saveexec_b64 s[0:1], vcc
	s_cbranch_execz .LBB54_12
; %bb.11:
	v_lshl_add_u32 v1, v11, 2, -4
	ds_read_b32 v1, v1
.LBB54_12:
	s_or_b64 exec, exec, s[0:1]
	v_add_u32_e32 v2, -1, v6
	v_and_b32_e32 v11, 64, v6
	v_cmp_lt_i32_e32 vcc, v2, v11
	v_cndmask_b32_e32 v2, v2, v6, vcc
	s_waitcnt lgkmcnt(0)
	v_add_u32_e32 v0, v1, v0
	v_lshlrev_b32_e32 v2, 2, v2
	ds_bpermute_b32 v0, v2, v0
	v_cmp_eq_u32_e32 vcc, 0, v6
	s_lshl_b64 s[0:1], s[6:7], 2
	s_add_u32 s0, s2, s0
	s_addc_u32 s1, s3, s1
	s_waitcnt lgkmcnt(0)
	v_cndmask_b32_e32 v0, v0, v1, vcc
	ds_write_b32 v10, v0 offset:8
	s_waitcnt lgkmcnt(0)
	s_barrier
	ds_read_b32 v0, v13 offset:8
	ds_read_b32 v1, v16 offset:8
	ds_read_b32 v2, v17 offset:8
	s_waitcnt lgkmcnt(0)
	s_barrier
	v_add_u32_e32 v0, v0, v14
	v_add3_u32 v1, v4, v15, v1
	v_lshlrev_b32_e32 v4, 2, v9
	ds_write_b32 v4, v0
	v_lshlrev_b32_e32 v0, 2, v8
	v_add_u32_e32 v4, v4, v0
	v_add3_u32 v2, v18, v5, v2
	v_add_u32_e32 v0, v4, v0
	ds_write_b32 v0, v2
	v_lshlrev_b32_e32 v2, 2, v7
	ds_write_b32 v4, v1
	; wave barrier
	ds_read2_b32 v[0:1], v2 offset1:1
	ds_read_b32 v2, v2 offset:8
	v_lshlrev_b32_e32 v3, 2, v3
	s_waitcnt lgkmcnt(0)
	global_store_dwordx3 v3, v[0:2], s[0:1]
	s_endpgm
	.section	.rodata,"a",@progbits
	.p2align	6, 0x0
	.amdhsa_kernel _Z11rank_kernelILj102ELj3ELj3ELb1EL18RadixRankAlgorithm2EtEvPKT4_Pijj
		.amdhsa_group_segment_fixed_size 1232
		.amdhsa_private_segment_fixed_size 0
		.amdhsa_kernarg_size 280
		.amdhsa_user_sgpr_count 6
		.amdhsa_user_sgpr_private_segment_buffer 1
		.amdhsa_user_sgpr_dispatch_ptr 0
		.amdhsa_user_sgpr_queue_ptr 0
		.amdhsa_user_sgpr_kernarg_segment_ptr 1
		.amdhsa_user_sgpr_dispatch_id 0
		.amdhsa_user_sgpr_flat_scratch_init 0
		.amdhsa_user_sgpr_kernarg_preload_length 0
		.amdhsa_user_sgpr_kernarg_preload_offset 0
		.amdhsa_user_sgpr_private_segment_size 0
		.amdhsa_uses_dynamic_stack 0
		.amdhsa_system_sgpr_private_segment_wavefront_offset 0
		.amdhsa_system_sgpr_workgroup_id_x 1
		.amdhsa_system_sgpr_workgroup_id_y 0
		.amdhsa_system_sgpr_workgroup_id_z 0
		.amdhsa_system_sgpr_workgroup_info 0
		.amdhsa_system_vgpr_workitem_id 2
		.amdhsa_next_free_vgpr 22
		.amdhsa_next_free_sgpr 12
		.amdhsa_accum_offset 24
		.amdhsa_reserve_vcc 1
		.amdhsa_reserve_flat_scratch 0
		.amdhsa_float_round_mode_32 0
		.amdhsa_float_round_mode_16_64 0
		.amdhsa_float_denorm_mode_32 3
		.amdhsa_float_denorm_mode_16_64 3
		.amdhsa_dx10_clamp 1
		.amdhsa_ieee_mode 1
		.amdhsa_fp16_overflow 0
		.amdhsa_tg_split 0
		.amdhsa_exception_fp_ieee_invalid_op 0
		.amdhsa_exception_fp_denorm_src 0
		.amdhsa_exception_fp_ieee_div_zero 0
		.amdhsa_exception_fp_ieee_overflow 0
		.amdhsa_exception_fp_ieee_underflow 0
		.amdhsa_exception_fp_ieee_inexact 0
		.amdhsa_exception_int_div_zero 0
	.end_amdhsa_kernel
	.section	.text._Z11rank_kernelILj102ELj3ELj3ELb1EL18RadixRankAlgorithm2EtEvPKT4_Pijj,"axG",@progbits,_Z11rank_kernelILj102ELj3ELj3ELb1EL18RadixRankAlgorithm2EtEvPKT4_Pijj,comdat
.Lfunc_end54:
	.size	_Z11rank_kernelILj102ELj3ELj3ELb1EL18RadixRankAlgorithm2EtEvPKT4_Pijj, .Lfunc_end54-_Z11rank_kernelILj102ELj3ELj3ELb1EL18RadixRankAlgorithm2EtEvPKT4_Pijj
                                        ; -- End function
	.section	.AMDGPU.csdata,"",@progbits
; Kernel info:
; codeLenInByte = 1520
; NumSgprs: 16
; NumVgprs: 22
; NumAgprs: 0
; TotalNumVgprs: 22
; ScratchSize: 0
; MemoryBound: 0
; FloatMode: 240
; IeeeMode: 1
; LDSByteSize: 1232 bytes/workgroup (compile time only)
; SGPRBlocks: 1
; VGPRBlocks: 2
; NumSGPRsForWavesPerEU: 16
; NumVGPRsForWavesPerEU: 22
; AccumOffset: 24
; Occupancy: 8
; WaveLimiterHint : 0
; COMPUTE_PGM_RSRC2:SCRATCH_EN: 0
; COMPUTE_PGM_RSRC2:USER_SGPR: 6
; COMPUTE_PGM_RSRC2:TRAP_HANDLER: 0
; COMPUTE_PGM_RSRC2:TGID_X_EN: 1
; COMPUTE_PGM_RSRC2:TGID_Y_EN: 0
; COMPUTE_PGM_RSRC2:TGID_Z_EN: 0
; COMPUTE_PGM_RSRC2:TIDIG_COMP_CNT: 2
; COMPUTE_PGM_RSRC3_GFX90A:ACCUM_OFFSET: 5
; COMPUTE_PGM_RSRC3_GFX90A:TG_SPLIT: 0
	.section	.text._Z11rank_kernelILj64ELj1ELj5ELb0EL18RadixRankAlgorithm2EyEvPKT4_Pijj,"axG",@progbits,_Z11rank_kernelILj64ELj1ELj5ELb0EL18RadixRankAlgorithm2EyEvPKT4_Pijj,comdat
	.protected	_Z11rank_kernelILj64ELj1ELj5ELb0EL18RadixRankAlgorithm2EyEvPKT4_Pijj ; -- Begin function _Z11rank_kernelILj64ELj1ELj5ELb0EL18RadixRankAlgorithm2EyEvPKT4_Pijj
	.globl	_Z11rank_kernelILj64ELj1ELj5ELb0EL18RadixRankAlgorithm2EyEvPKT4_Pijj
	.p2align	8
	.type	_Z11rank_kernelILj64ELj1ELj5ELb0EL18RadixRankAlgorithm2EyEvPKT4_Pijj,@function
_Z11rank_kernelILj64ELj1ELj5ELb0EL18RadixRankAlgorithm2EyEvPKT4_Pijj: ; @_Z11rank_kernelILj64ELj1ELj5ELb0EL18RadixRankAlgorithm2EyEvPKT4_Pijj
; %bb.0:
	s_load_dwordx4 s[0:3], s[4:5], 0x0
	s_load_dwordx2 s[8:9], s[4:5], 0x10
	s_lshl_b32 s6, s6, 6
	s_mov_b32 s7, 0
	s_lshl_b64 s[10:11], s[6:7], 3
	s_waitcnt lgkmcnt(0)
	s_add_u32 s0, s0, s10
	v_and_b32_e32 v2, 0x3ff, v0
	s_addc_u32 s1, s1, s11
	v_lshlrev_b32_e32 v1, 3, v2
	global_load_dwordx2 v[6:7], v1, s[0:1]
	s_load_dword s0, s[4:5], 0x24
	v_mbcnt_lo_u32_b32 v1, -1, 0
	v_mbcnt_hi_u32_b32 v3, -1, v1
	v_bfe_u32 v1, v0, 10, 10
	v_bfe_u32 v0, v0, 20, 10
	s_waitcnt lgkmcnt(0)
	s_lshr_b32 s1, s0, 16
	s_and_b32 s0, s0, 0xffff
	v_mad_u32_u24 v0, v0, s1, v1
	v_lshlrev_b32_e32 v5, 3, v3
	v_mad_u64_u32 v[0:1], s[0:1], v0, s0, v[2:3]
	v_lshrrev_b32_e32 v9, 6, v0
	s_and_b32 s4, s9, 63
	s_and_b32 s5, s8, 63
	s_add_i32 s5, s5, s4
	s_sub_i32 s8, 64, s4
	s_sub_i32 s0, 64, s5
	s_cmp_lg_u32 s4, 0
	s_cselect_b64 vcc, -1, 0
	v_mov_b32_e32 v8, 0
	v_lshlrev_b32_e32 v4, 2, v2
	s_waitcnt vmcnt(0)
	ds_write_b64 v5, v[6:7]
	; wave barrier
	ds_read_b64 v[0:1], v5
	s_waitcnt lgkmcnt(0)
	; wave barrier
	s_waitcnt lgkmcnt(0)
	ds_write_b32 v4, v8 offset:4
	s_waitcnt lgkmcnt(0)
	v_lshlrev_b64 v[0:1], s0, v[0:1]
	v_lshrrev_b64 v[0:1], s8, v[0:1]
	v_cndmask_b32_e32 v0, 0, v0, vcc
	v_and_b32_e32 v1, 1, v0
	v_add_co_u32_e32 v6, vcc, -1, v1
	v_add_lshl_u32 v5, v9, v0, 2
	v_lshlrev_b32_e32 v9, 30, v0
	v_addc_co_u32_e64 v7, s[0:1], 0, -1, vcc
	v_cmp_ne_u32_e32 vcc, 0, v1
	v_cmp_gt_i64_e64 s[0:1], 0, v[8:9]
	v_not_b32_e32 v1, v9
	v_lshlrev_b32_e32 v9, 29, v0
	v_xor_b32_e32 v7, vcc_hi, v7
	v_xor_b32_e32 v6, vcc_lo, v6
	v_ashrrev_i32_e32 v1, 31, v1
	v_cmp_gt_i64_e32 vcc, 0, v[8:9]
	v_not_b32_e32 v10, v9
	v_lshlrev_b32_e32 v9, 28, v0
	v_and_b32_e32 v7, exec_hi, v7
	v_and_b32_e32 v6, exec_lo, v6
	v_xor_b32_e32 v11, s1, v1
	v_xor_b32_e32 v1, s0, v1
	v_ashrrev_i32_e32 v10, 31, v10
	v_cmp_gt_i64_e64 s[0:1], 0, v[8:9]
	v_not_b32_e32 v12, v9
	v_lshlrev_b32_e32 v9, 27, v0
	v_and_b32_e32 v0, v7, v11
	v_and_b32_e32 v1, v6, v1
	v_xor_b32_e32 v6, vcc_hi, v10
	v_xor_b32_e32 v7, vcc_lo, v10
	v_ashrrev_i32_e32 v10, 31, v12
	v_cmp_gt_i64_e32 vcc, 0, v[8:9]
	v_not_b32_e32 v8, v9
	v_and_b32_e32 v0, v0, v6
	v_and_b32_e32 v1, v1, v7
	v_xor_b32_e32 v6, s1, v10
	v_xor_b32_e32 v7, s0, v10
	v_ashrrev_i32_e32 v8, 31, v8
	v_and_b32_e32 v0, v0, v6
	v_and_b32_e32 v6, v1, v7
	v_xor_b32_e32 v1, vcc_hi, v8
	v_xor_b32_e32 v7, vcc_lo, v8
	v_and_b32_e32 v1, v0, v1
	v_and_b32_e32 v0, v6, v7
	v_mbcnt_lo_u32_b32 v6, v0, 0
	v_mbcnt_hi_u32_b32 v6, v1, v6
	v_cmp_eq_u32_e32 vcc, 0, v6
	v_cmp_ne_u64_e64 s[0:1], 0, v[0:1]
	s_and_b64 s[4:5], s[0:1], vcc
	; wave barrier
	s_waitcnt lgkmcnt(0)
	; wave barrier
	s_and_saveexec_b64 s[0:1], s[4:5]
	s_cbranch_execz .LBB55_2
; %bb.1:
	v_bcnt_u32_b32 v0, v0, 0
	v_bcnt_u32_b32 v0, v1, v0
	ds_write_b32 v5, v0 offset:4
.LBB55_2:
	s_or_b64 exec, exec, s[0:1]
	; wave barrier
	s_waitcnt lgkmcnt(0)
	; wave barrier
	s_waitcnt lgkmcnt(0)
	ds_read_b32 v0, v4 offset:4
	v_and_b32_e32 v1, 15, v3
	v_cmp_ne_u32_e32 vcc, 0, v1
	s_waitcnt lgkmcnt(0)
	v_mov_b32_dpp v7, v0 row_shr:1 row_mask:0xf bank_mask:0xf
	v_cndmask_b32_e32 v7, 0, v7, vcc
	v_add_u32_e32 v0, v7, v0
	v_cmp_lt_u32_e32 vcc, 1, v1
	s_nop 0
	v_mov_b32_dpp v7, v0 row_shr:2 row_mask:0xf bank_mask:0xf
	v_cndmask_b32_e32 v7, 0, v7, vcc
	v_add_u32_e32 v0, v0, v7
	v_cmp_lt_u32_e32 vcc, 3, v1
	s_nop 0
	;; [unrolled: 5-line block ×3, first 2 shown]
	v_mov_b32_dpp v7, v0 row_shr:8 row_mask:0xf bank_mask:0xf
	v_cndmask_b32_e32 v1, 0, v7, vcc
	v_add_u32_e32 v0, v0, v1
	v_bfe_i32 v7, v3, 4, 1
	v_cmp_lt_u32_e32 vcc, 31, v3
	v_mov_b32_dpp v1, v0 row_bcast:15 row_mask:0xf bank_mask:0xf
	v_and_b32_e32 v1, v7, v1
	v_add_u32_e32 v0, v0, v1
	s_nop 1
	v_mov_b32_dpp v1, v0 row_bcast:31 row_mask:0xf bank_mask:0xf
	v_cndmask_b32_e32 v1, 0, v1, vcc
	v_add_u32_e32 v0, v0, v1
	v_cmp_eq_u32_e32 vcc, 63, v2
	s_and_saveexec_b64 s[0:1], vcc
	s_cbranch_execz .LBB55_4
; %bb.3:
	v_mov_b32_e32 v1, 0
	ds_write_b32 v1, v0
.LBB55_4:
	s_or_b64 exec, exec, s[0:1]
	v_add_u32_e32 v1, -1, v3
	v_and_b32_e32 v2, 64, v3
	v_cmp_lt_i32_e32 vcc, v1, v2
	v_cndmask_b32_e32 v1, v1, v3, vcc
	v_lshlrev_b32_e32 v1, 2, v1
	ds_bpermute_b32 v0, v1, v0
	v_cmp_ne_u32_e32 vcc, 0, v3
	s_waitcnt lgkmcnt(0)
	; wave barrier
	s_waitcnt lgkmcnt(0)
	v_lshlrev_b32_e32 v1, 2, v3
	v_cndmask_b32_e32 v0, 0, v0, vcc
	ds_write_b32 v4, v0 offset:4
	s_waitcnt lgkmcnt(0)
	; wave barrier
	s_waitcnt lgkmcnt(0)
	ds_read_b32 v0, v5 offset:4
	s_waitcnt lgkmcnt(0)
	; wave barrier
	s_waitcnt lgkmcnt(0)
	s_lshl_b64 s[0:1], s[6:7], 2
	s_add_u32 s0, s2, s0
	v_add_u32_e32 v0, v0, v6
	ds_write_b32 v1, v0
	; wave barrier
	ds_read_b32 v0, v1
	s_addc_u32 s1, s3, s1
	s_waitcnt lgkmcnt(0)
	global_store_dword v4, v0, s[0:1]
	s_endpgm
	.section	.rodata,"a",@progbits
	.p2align	6, 0x0
	.amdhsa_kernel _Z11rank_kernelILj64ELj1ELj5ELb0EL18RadixRankAlgorithm2EyEvPKT4_Pijj
		.amdhsa_group_segment_fixed_size 512
		.amdhsa_private_segment_fixed_size 0
		.amdhsa_kernarg_size 280
		.amdhsa_user_sgpr_count 6
		.amdhsa_user_sgpr_private_segment_buffer 1
		.amdhsa_user_sgpr_dispatch_ptr 0
		.amdhsa_user_sgpr_queue_ptr 0
		.amdhsa_user_sgpr_kernarg_segment_ptr 1
		.amdhsa_user_sgpr_dispatch_id 0
		.amdhsa_user_sgpr_flat_scratch_init 0
		.amdhsa_user_sgpr_kernarg_preload_length 0
		.amdhsa_user_sgpr_kernarg_preload_offset 0
		.amdhsa_user_sgpr_private_segment_size 0
		.amdhsa_uses_dynamic_stack 0
		.amdhsa_system_sgpr_private_segment_wavefront_offset 0
		.amdhsa_system_sgpr_workgroup_id_x 1
		.amdhsa_system_sgpr_workgroup_id_y 0
		.amdhsa_system_sgpr_workgroup_id_z 0
		.amdhsa_system_sgpr_workgroup_info 0
		.amdhsa_system_vgpr_workitem_id 2
		.amdhsa_next_free_vgpr 13
		.amdhsa_next_free_sgpr 12
		.amdhsa_accum_offset 16
		.amdhsa_reserve_vcc 1
		.amdhsa_reserve_flat_scratch 0
		.amdhsa_float_round_mode_32 0
		.amdhsa_float_round_mode_16_64 0
		.amdhsa_float_denorm_mode_32 3
		.amdhsa_float_denorm_mode_16_64 3
		.amdhsa_dx10_clamp 1
		.amdhsa_ieee_mode 1
		.amdhsa_fp16_overflow 0
		.amdhsa_tg_split 0
		.amdhsa_exception_fp_ieee_invalid_op 0
		.amdhsa_exception_fp_denorm_src 0
		.amdhsa_exception_fp_ieee_div_zero 0
		.amdhsa_exception_fp_ieee_overflow 0
		.amdhsa_exception_fp_ieee_underflow 0
		.amdhsa_exception_fp_ieee_inexact 0
		.amdhsa_exception_int_div_zero 0
	.end_amdhsa_kernel
	.section	.text._Z11rank_kernelILj64ELj1ELj5ELb0EL18RadixRankAlgorithm2EyEvPKT4_Pijj,"axG",@progbits,_Z11rank_kernelILj64ELj1ELj5ELb0EL18RadixRankAlgorithm2EyEvPKT4_Pijj,comdat
.Lfunc_end55:
	.size	_Z11rank_kernelILj64ELj1ELj5ELb0EL18RadixRankAlgorithm2EyEvPKT4_Pijj, .Lfunc_end55-_Z11rank_kernelILj64ELj1ELj5ELb0EL18RadixRankAlgorithm2EyEvPKT4_Pijj
                                        ; -- End function
	.section	.AMDGPU.csdata,"",@progbits
; Kernel info:
; codeLenInByte = 808
; NumSgprs: 16
; NumVgprs: 13
; NumAgprs: 0
; TotalNumVgprs: 13
; ScratchSize: 0
; MemoryBound: 0
; FloatMode: 240
; IeeeMode: 1
; LDSByteSize: 512 bytes/workgroup (compile time only)
; SGPRBlocks: 1
; VGPRBlocks: 1
; NumSGPRsForWavesPerEU: 16
; NumVGPRsForWavesPerEU: 13
; AccumOffset: 16
; Occupancy: 8
; WaveLimiterHint : 0
; COMPUTE_PGM_RSRC2:SCRATCH_EN: 0
; COMPUTE_PGM_RSRC2:USER_SGPR: 6
; COMPUTE_PGM_RSRC2:TRAP_HANDLER: 0
; COMPUTE_PGM_RSRC2:TGID_X_EN: 1
; COMPUTE_PGM_RSRC2:TGID_Y_EN: 0
; COMPUTE_PGM_RSRC2:TGID_Z_EN: 0
; COMPUTE_PGM_RSRC2:TIDIG_COMP_CNT: 2
; COMPUTE_PGM_RSRC3_GFX90A:ACCUM_OFFSET: 3
; COMPUTE_PGM_RSRC3_GFX90A:TG_SPLIT: 0
	.section	.text._Z11rank_kernelILj234ELj9ELj4ELb0EL18RadixRankAlgorithm2E12hip_bfloat16EvPKT4_Pijj,"axG",@progbits,_Z11rank_kernelILj234ELj9ELj4ELb0EL18RadixRankAlgorithm2E12hip_bfloat16EvPKT4_Pijj,comdat
	.protected	_Z11rank_kernelILj234ELj9ELj4ELb0EL18RadixRankAlgorithm2E12hip_bfloat16EvPKT4_Pijj ; -- Begin function _Z11rank_kernelILj234ELj9ELj4ELb0EL18RadixRankAlgorithm2E12hip_bfloat16EvPKT4_Pijj
	.globl	_Z11rank_kernelILj234ELj9ELj4ELb0EL18RadixRankAlgorithm2E12hip_bfloat16EvPKT4_Pijj
	.p2align	8
	.type	_Z11rank_kernelILj234ELj9ELj4ELb0EL18RadixRankAlgorithm2E12hip_bfloat16EvPKT4_Pijj,@function
_Z11rank_kernelILj234ELj9ELj4ELb0EL18RadixRankAlgorithm2E12hip_bfloat16EvPKT4_Pijj: ; @_Z11rank_kernelILj234ELj9ELj4ELb0EL18RadixRankAlgorithm2E12hip_bfloat16EvPKT4_Pijj
; %bb.0:
	s_load_dwordx4 s[0:3], s[4:5], 0x0
	s_load_dwordx2 s[8:9], s[4:5], 0x10
	s_mulk_i32 s6, 0x83a
	s_mov_b32 s7, 0
	v_and_b32_e32 v2, 0x3ff, v0
	s_lshl_b64 s[10:11], s[6:7], 1
	s_waitcnt lgkmcnt(0)
	s_add_u32 s0, s0, s10
	v_mul_u32_u24_e32 v3, 9, v2
	s_addc_u32 s1, s1, s11
	v_lshlrev_b32_e32 v1, 1, v3
	global_load_dwordx4 v[20:23], v1, s[0:1]
	global_load_ushort v5, v1, s[0:1] offset:16
	v_mbcnt_lo_u32_b32 v1, -1, 0
	s_movk_i32 s0, 0xc0
	v_and_b32_e32 v12, 0xc0, v2
	s_movk_i32 s1, 0x240
	s_load_dword s4, s[4:5], 0x24
	v_mbcnt_hi_u32_b32 v9, -1, v1
	v_lshrrev_b32_e32 v11, 6, v2
	v_cmp_eq_u32_e32 vcc, s0, v12
	v_cndmask_b32_e64 v7, 64, 42, vcc
	v_mad_u32_u24 v8, v11, s1, v9
	v_lshlrev_b32_e32 v13, 1, v8
	v_lshlrev_b32_e32 v14, 1, v7
	v_add_u32_e32 v17, v13, v14
	v_add_u32_e32 v19, v17, v14
	v_bfe_u32 v1, v0, 10, 10
	v_bfe_u32 v0, v0, 20, 10
	v_add_u32_e32 v24, v19, v14
	s_waitcnt lgkmcnt(0)
	s_lshr_b32 s0, s4, 16
	s_and_b32 s1, s4, 0xffff
	v_add_u32_e32 v25, v24, v14
	v_mad_u32_u24 v0, v0, s0, v1
	v_mul_u32_u24_e32 v6, 0x240, v11
	v_add_u32_e32 v26, v25, v14
	v_mad_u64_u32 v[0:1], s[0:1], v0, s1, v[2:3]
	v_mad_u32_u24 v6, v9, 9, v6
	v_add_u32_e32 v1, v26, v14
	v_lshlrev_b32_e32 v16, 1, v6
	v_lshrrev_b32_e32 v18, 6, v0
	v_add_u32_e32 v0, v1, v14
	v_mov_b32_e32 v15, 0xffff8000
	s_and_b32 s9, s9, 31
	v_add_u32_e32 v14, v0, v14
	s_cmp_eq_u32 s9, 0
	s_movk_i32 s10, 0x7fff
	s_cselect_b64 s[4:5], -1, 0
	s_and_b32 s0, s8, 31
	s_add_i32 s0, s0, s9
	s_sub_i32 s8, 32, s9
	s_sub_i32 s9, 32, s0
	v_mov_b32_e32 v4, 0
	v_lshlrev_b32_e32 v10, 2, v2
	s_waitcnt vmcnt(1)
	ds_write_b128 v16, v[20:23]
	s_waitcnt vmcnt(0)
	ds_write_b16 v16, v5 offset:16
	; wave barrier
	ds_read_u16 v5, v13
	ds_read_u16 v16, v17
	;; [unrolled: 1-line block ×9, first 2 shown]
	s_waitcnt lgkmcnt(8)
	v_cmp_lt_i16_e32 vcc, -1, v5
	v_cndmask_b32_e32 v0, -1, v15, vcc
	v_xor_b32_e32 v0, v0, v5
	v_cmp_ne_u16_e32 vcc, s10, v0
	v_cndmask_b32_e32 v0, v15, v0, vcc
	v_lshlrev_b32_sdwa v0, s9, v0 dst_sel:DWORD dst_unused:UNUSED_PAD src0_sel:DWORD src1_sel:WORD_0
	v_bfe_u32 v0, v0, s8, 16
	v_cndmask_b32_e64 v0, v0, 0, s[4:5]
	v_mul_u32_u24_e32 v1, 5, v0
	v_and_b32_e32 v14, 1, v0
	v_add_lshl_u32 v13, v1, v18, 2
	v_add_co_u32_e32 v1, vcc, -1, v14
	v_lshlrev_b32_e32 v5, 30, v0
	v_addc_co_u32_e64 v17, s[0:1], 0, -1, vcc
	v_cmp_ne_u32_e32 vcc, 0, v14
	v_cmp_gt_i64_e64 s[0:1], 0, v[4:5]
	v_not_b32_e32 v5, v5
	v_xor_b32_e32 v1, vcc_lo, v1
	v_ashrrev_i32_e32 v5, 31, v5
	v_xor_b32_e32 v14, vcc_hi, v17
	v_and_b32_e32 v1, exec_lo, v1
	v_xor_b32_e32 v17, s1, v5
	v_xor_b32_e32 v5, s0, v5
	v_and_b32_e32 v1, v1, v5
	v_lshlrev_b32_e32 v5, 29, v0
	v_cmp_gt_i64_e32 vcc, 0, v[4:5]
	v_not_b32_e32 v5, v5
	v_and_b32_e32 v14, exec_hi, v14
	v_ashrrev_i32_e32 v5, 31, v5
	v_and_b32_e32 v14, v14, v17
	v_xor_b32_e32 v17, vcc_hi, v5
	v_xor_b32_e32 v5, vcc_lo, v5
	v_and_b32_e32 v14, v14, v17
	v_and_b32_e32 v17, v1, v5
	v_lshlrev_b32_e32 v5, 28, v0
	v_not_b32_e32 v0, v5
	v_cmp_gt_i64_e32 vcc, 0, v[4:5]
	v_ashrrev_i32_e32 v0, 31, v0
	v_xor_b32_e32 v1, vcc_hi, v0
	v_xor_b32_e32 v0, vcc_lo, v0
	v_and_b32_e32 v0, v17, v0
	v_and_b32_e32 v1, v14, v1
	v_mbcnt_lo_u32_b32 v5, v0, 0
	v_mbcnt_hi_u32_b32 v14, v1, v5
	v_cmp_eq_u32_e32 vcc, 0, v14
	v_cmp_ne_u64_e64 s[0:1], 0, v[0:1]
	s_and_b64 s[12:13], vcc, s[0:1]
	s_waitcnt lgkmcnt(0)
	s_barrier
	ds_write_b32 v10, v4 offset:16
	s_waitcnt lgkmcnt(0)
	s_barrier
	s_waitcnt lgkmcnt(0)
	; wave barrier
	s_and_saveexec_b64 s[0:1], s[12:13]
	s_cbranch_execz .LBB56_2
; %bb.1:
	v_bcnt_u32_b32 v0, v0, 0
	v_bcnt_u32_b32 v0, v1, v0
	ds_write_b32 v13, v0 offset:16
.LBB56_2:
	s_or_b64 exec, exec, s[0:1]
	v_cmp_lt_i16_e32 vcc, -1, v16
	v_cndmask_b32_e32 v0, -1, v15, vcc
	v_xor_b32_e32 v0, v0, v16
	v_cmp_ne_u16_e32 vcc, s10, v0
	v_cndmask_b32_e32 v0, v15, v0, vcc
	v_lshlrev_b32_sdwa v0, s9, v0 dst_sel:DWORD dst_unused:UNUSED_PAD src0_sel:DWORD src1_sel:WORD_0
	v_bfe_u32 v0, v0, s8, 16
	v_cndmask_b32_e64 v0, v0, 0, s[4:5]
	v_mul_u32_u24_e32 v1, 5, v0
	v_add_lshl_u32 v16, v1, v18, 2
	v_and_b32_e32 v1, 1, v0
	v_add_co_u32_e32 v5, vcc, -1, v1
	v_addc_co_u32_e64 v17, s[0:1], 0, -1, vcc
	v_cmp_ne_u32_e32 vcc, 0, v1
	v_xor_b32_e32 v5, vcc_lo, v5
	v_xor_b32_e32 v1, vcc_hi, v17
	v_and_b32_e32 v17, exec_lo, v5
	v_lshlrev_b32_e32 v5, 30, v0
	v_cmp_gt_i64_e32 vcc, 0, v[4:5]
	v_not_b32_e32 v5, v5
	v_ashrrev_i32_e32 v5, 31, v5
	v_xor_b32_e32 v20, vcc_hi, v5
	v_xor_b32_e32 v5, vcc_lo, v5
	v_and_b32_e32 v17, v17, v5
	v_lshlrev_b32_e32 v5, 29, v0
	v_cmp_gt_i64_e32 vcc, 0, v[4:5]
	v_not_b32_e32 v5, v5
	v_and_b32_e32 v1, exec_hi, v1
	v_ashrrev_i32_e32 v5, 31, v5
	v_and_b32_e32 v1, v1, v20
	v_xor_b32_e32 v20, vcc_hi, v5
	v_xor_b32_e32 v5, vcc_lo, v5
	v_and_b32_e32 v17, v17, v5
	v_lshlrev_b32_e32 v5, 28, v0
	v_not_b32_e32 v0, v5
	v_cmp_gt_i64_e32 vcc, 0, v[4:5]
	v_ashrrev_i32_e32 v0, 31, v0
	v_xor_b32_e32 v4, vcc_hi, v0
	v_xor_b32_e32 v0, vcc_lo, v0
	; wave barrier
	ds_read_b32 v15, v16 offset:16
	v_and_b32_e32 v1, v1, v20
	v_and_b32_e32 v0, v17, v0
	;; [unrolled: 1-line block ×3, first 2 shown]
	v_mbcnt_lo_u32_b32 v4, v0, 0
	v_mbcnt_hi_u32_b32 v17, v1, v4
	v_cmp_eq_u32_e32 vcc, 0, v17
	v_cmp_ne_u64_e64 s[0:1], 0, v[0:1]
	s_and_b64 s[10:11], vcc, s[0:1]
	; wave barrier
	s_and_saveexec_b64 s[0:1], s[10:11]
	s_cbranch_execz .LBB56_4
; %bb.3:
	v_bcnt_u32_b32 v0, v0, 0
	v_bcnt_u32_b32 v0, v1, v0
	s_waitcnt lgkmcnt(0)
	v_add_u32_e32 v0, v15, v0
	ds_write_b32 v16, v0 offset:16
.LBB56_4:
	s_or_b64 exec, exec, s[0:1]
	v_mov_b32_e32 v24, 0xffff8000
	v_cmp_lt_i16_e32 vcc, -1, v19
	v_cndmask_b32_e32 v0, -1, v24, vcc
	v_xor_b32_e32 v0, v0, v19
	s_movk_i32 s10, 0x7fff
	v_cmp_ne_u16_e32 vcc, s10, v0
	v_cndmask_b32_e32 v0, v24, v0, vcc
	v_lshlrev_b32_sdwa v0, s9, v0 dst_sel:DWORD dst_unused:UNUSED_PAD src0_sel:DWORD src1_sel:WORD_0
	v_bfe_u32 v1, v0, s8, 16
	v_cndmask_b32_e64 v4, v1, 0, s[4:5]
	v_mul_u32_u24_e32 v1, 5, v4
	v_add_lshl_u32 v20, v1, v18, 2
	v_and_b32_e32 v1, 1, v4
	v_add_co_u32_e32 v5, vcc, -1, v1
	v_addc_co_u32_e64 v22, s[0:1], 0, -1, vcc
	v_cmp_ne_u32_e32 vcc, 0, v1
	v_xor_b32_e32 v1, vcc_hi, v22
	v_mov_b32_e32 v0, 0
	v_and_b32_e32 v22, exec_hi, v1
	v_lshlrev_b32_e32 v1, 30, v4
	v_xor_b32_e32 v5, vcc_lo, v5
	v_cmp_gt_i64_e32 vcc, 0, v[0:1]
	v_not_b32_e32 v1, v1
	v_ashrrev_i32_e32 v1, 31, v1
	v_and_b32_e32 v5, exec_lo, v5
	v_xor_b32_e32 v26, vcc_hi, v1
	v_xor_b32_e32 v1, vcc_lo, v1
	v_and_b32_e32 v5, v5, v1
	v_lshlrev_b32_e32 v1, 29, v4
	v_cmp_gt_i64_e32 vcc, 0, v[0:1]
	v_not_b32_e32 v1, v1
	v_ashrrev_i32_e32 v1, 31, v1
	v_and_b32_e32 v22, v22, v26
	v_xor_b32_e32 v26, vcc_hi, v1
	v_xor_b32_e32 v1, vcc_lo, v1
	v_and_b32_e32 v22, v22, v26
	v_and_b32_e32 v26, v5, v1
	v_lshlrev_b32_e32 v1, 28, v4
	v_cmp_gt_i64_e32 vcc, 0, v[0:1]
	v_not_b32_e32 v1, v1
	v_ashrrev_i32_e32 v1, 31, v1
	v_xor_b32_e32 v4, vcc_hi, v1
	v_xor_b32_e32 v1, vcc_lo, v1
	; wave barrier
	ds_read_b32 v19, v20 offset:16
	v_and_b32_e32 v5, v22, v4
	v_and_b32_e32 v4, v26, v1
	v_mbcnt_lo_u32_b32 v1, v4, 0
	v_mbcnt_hi_u32_b32 v22, v5, v1
	v_cmp_eq_u32_e32 vcc, 0, v22
	v_cmp_ne_u64_e64 s[0:1], 0, v[4:5]
	s_and_b64 s[12:13], vcc, s[0:1]
	; wave barrier
	s_and_saveexec_b64 s[0:1], s[12:13]
	s_cbranch_execz .LBB56_6
; %bb.5:
	v_bcnt_u32_b32 v1, v4, 0
	v_bcnt_u32_b32 v1, v5, v1
	s_waitcnt lgkmcnt(0)
	v_add_u32_e32 v1, v19, v1
	ds_write_b32 v20, v1 offset:16
.LBB56_6:
	s_or_b64 exec, exec, s[0:1]
	v_cmp_lt_i16_e32 vcc, -1, v23
	v_cndmask_b32_e32 v1, -1, v24, vcc
	v_xor_b32_e32 v1, v1, v23
	v_cmp_ne_u16_e32 vcc, s10, v1
	v_cndmask_b32_e32 v1, v24, v1, vcc
	v_lshlrev_b32_sdwa v1, s9, v1 dst_sel:DWORD dst_unused:UNUSED_PAD src0_sel:DWORD src1_sel:WORD_0
	v_bfe_u32 v1, v1, s8, 16
	v_cndmask_b32_e64 v4, v1, 0, s[4:5]
	v_mul_u32_u24_e32 v1, 5, v4
	v_add_lshl_u32 v24, v1, v18, 2
	v_and_b32_e32 v1, 1, v4
	v_add_co_u32_e32 v5, vcc, -1, v1
	v_addc_co_u32_e64 v26, s[0:1], 0, -1, vcc
	v_cmp_ne_u32_e32 vcc, 0, v1
	v_xor_b32_e32 v1, vcc_hi, v26
	v_and_b32_e32 v26, exec_hi, v1
	v_lshlrev_b32_e32 v1, 30, v4
	v_xor_b32_e32 v5, vcc_lo, v5
	v_cmp_gt_i64_e32 vcc, 0, v[0:1]
	v_not_b32_e32 v1, v1
	v_ashrrev_i32_e32 v1, 31, v1
	v_and_b32_e32 v5, exec_lo, v5
	v_xor_b32_e32 v28, vcc_hi, v1
	v_xor_b32_e32 v1, vcc_lo, v1
	v_and_b32_e32 v5, v5, v1
	v_lshlrev_b32_e32 v1, 29, v4
	v_cmp_gt_i64_e32 vcc, 0, v[0:1]
	v_not_b32_e32 v1, v1
	v_ashrrev_i32_e32 v1, 31, v1
	v_and_b32_e32 v26, v26, v28
	v_xor_b32_e32 v28, vcc_hi, v1
	v_xor_b32_e32 v1, vcc_lo, v1
	v_and_b32_e32 v5, v5, v1
	v_lshlrev_b32_e32 v1, 28, v4
	v_cmp_gt_i64_e32 vcc, 0, v[0:1]
	v_not_b32_e32 v0, v1
	v_ashrrev_i32_e32 v0, 31, v0
	v_xor_b32_e32 v1, vcc_hi, v0
	v_xor_b32_e32 v0, vcc_lo, v0
	; wave barrier
	ds_read_b32 v23, v24 offset:16
	v_and_b32_e32 v26, v26, v28
	v_and_b32_e32 v0, v5, v0
	;; [unrolled: 1-line block ×3, first 2 shown]
	v_mbcnt_lo_u32_b32 v4, v0, 0
	v_mbcnt_hi_u32_b32 v26, v1, v4
	v_cmp_eq_u32_e32 vcc, 0, v26
	v_cmp_ne_u64_e64 s[0:1], 0, v[0:1]
	s_and_b64 s[10:11], vcc, s[0:1]
	; wave barrier
	s_and_saveexec_b64 s[0:1], s[10:11]
	s_cbranch_execz .LBB56_8
; %bb.7:
	v_bcnt_u32_b32 v0, v0, 0
	v_bcnt_u32_b32 v0, v1, v0
	s_waitcnt lgkmcnt(0)
	v_add_u32_e32 v0, v23, v0
	ds_write_b32 v24, v0 offset:16
.LBB56_8:
	s_or_b64 exec, exec, s[0:1]
	v_mov_b32_e32 v32, 0xffff8000
	v_cmp_lt_i16_e32 vcc, -1, v27
	v_cndmask_b32_e32 v0, -1, v32, vcc
	v_xor_b32_e32 v0, v0, v27
	s_movk_i32 s10, 0x7fff
	v_cmp_ne_u16_e32 vcc, s10, v0
	v_cndmask_b32_e32 v0, v32, v0, vcc
	v_lshlrev_b32_sdwa v0, s9, v0 dst_sel:DWORD dst_unused:UNUSED_PAD src0_sel:DWORD src1_sel:WORD_0
	v_bfe_u32 v1, v0, s8, 16
	v_cndmask_b32_e64 v4, v1, 0, s[4:5]
	v_mul_u32_u24_e32 v1, 5, v4
	v_add_lshl_u32 v28, v1, v18, 2
	v_and_b32_e32 v1, 1, v4
	v_add_co_u32_e32 v5, vcc, -1, v1
	v_addc_co_u32_e64 v30, s[0:1], 0, -1, vcc
	v_cmp_ne_u32_e32 vcc, 0, v1
	v_xor_b32_e32 v1, vcc_hi, v30
	v_mov_b32_e32 v0, 0
	v_and_b32_e32 v30, exec_hi, v1
	v_lshlrev_b32_e32 v1, 30, v4
	v_xor_b32_e32 v5, vcc_lo, v5
	v_cmp_gt_i64_e32 vcc, 0, v[0:1]
	v_not_b32_e32 v1, v1
	v_ashrrev_i32_e32 v1, 31, v1
	v_and_b32_e32 v5, exec_lo, v5
	v_xor_b32_e32 v33, vcc_hi, v1
	v_xor_b32_e32 v1, vcc_lo, v1
	v_and_b32_e32 v5, v5, v1
	v_lshlrev_b32_e32 v1, 29, v4
	v_cmp_gt_i64_e32 vcc, 0, v[0:1]
	v_not_b32_e32 v1, v1
	v_ashrrev_i32_e32 v1, 31, v1
	v_and_b32_e32 v30, v30, v33
	v_xor_b32_e32 v33, vcc_hi, v1
	v_xor_b32_e32 v1, vcc_lo, v1
	v_and_b32_e32 v30, v30, v33
	v_and_b32_e32 v33, v5, v1
	v_lshlrev_b32_e32 v1, 28, v4
	v_cmp_gt_i64_e32 vcc, 0, v[0:1]
	v_not_b32_e32 v1, v1
	v_ashrrev_i32_e32 v1, 31, v1
	v_xor_b32_e32 v4, vcc_hi, v1
	v_xor_b32_e32 v1, vcc_lo, v1
	; wave barrier
	ds_read_b32 v27, v28 offset:16
	v_and_b32_e32 v5, v30, v4
	v_and_b32_e32 v4, v33, v1
	v_mbcnt_lo_u32_b32 v1, v4, 0
	v_mbcnt_hi_u32_b32 v30, v5, v1
	v_cmp_eq_u32_e32 vcc, 0, v30
	v_cmp_ne_u64_e64 s[0:1], 0, v[4:5]
	s_and_b64 s[12:13], vcc, s[0:1]
	; wave barrier
	s_and_saveexec_b64 s[0:1], s[12:13]
	s_cbranch_execz .LBB56_10
; %bb.9:
	v_bcnt_u32_b32 v1, v4, 0
	v_bcnt_u32_b32 v1, v5, v1
	s_waitcnt lgkmcnt(0)
	v_add_u32_e32 v1, v27, v1
	ds_write_b32 v28, v1 offset:16
.LBB56_10:
	s_or_b64 exec, exec, s[0:1]
	v_cmp_lt_i16_e32 vcc, -1, v31
	v_cndmask_b32_e32 v1, -1, v32, vcc
	v_xor_b32_e32 v1, v1, v31
	v_cmp_ne_u16_e32 vcc, s10, v1
	v_cndmask_b32_e32 v1, v32, v1, vcc
	v_lshlrev_b32_sdwa v1, s9, v1 dst_sel:DWORD dst_unused:UNUSED_PAD src0_sel:DWORD src1_sel:WORD_0
	v_bfe_u32 v1, v1, s8, 16
	v_cndmask_b32_e64 v4, v1, 0, s[4:5]
	v_mul_u32_u24_e32 v1, 5, v4
	v_add_lshl_u32 v32, v1, v18, 2
	v_and_b32_e32 v1, 1, v4
	v_add_co_u32_e32 v5, vcc, -1, v1
	v_addc_co_u32_e64 v33, s[0:1], 0, -1, vcc
	v_cmp_ne_u32_e32 vcc, 0, v1
	v_xor_b32_e32 v1, vcc_hi, v33
	v_and_b32_e32 v33, exec_hi, v1
	v_lshlrev_b32_e32 v1, 30, v4
	v_xor_b32_e32 v5, vcc_lo, v5
	v_cmp_gt_i64_e32 vcc, 0, v[0:1]
	v_not_b32_e32 v1, v1
	v_ashrrev_i32_e32 v1, 31, v1
	v_and_b32_e32 v5, exec_lo, v5
	v_xor_b32_e32 v34, vcc_hi, v1
	v_xor_b32_e32 v1, vcc_lo, v1
	v_and_b32_e32 v5, v5, v1
	v_lshlrev_b32_e32 v1, 29, v4
	v_cmp_gt_i64_e32 vcc, 0, v[0:1]
	v_not_b32_e32 v1, v1
	v_ashrrev_i32_e32 v1, 31, v1
	v_and_b32_e32 v33, v33, v34
	v_xor_b32_e32 v34, vcc_hi, v1
	v_xor_b32_e32 v1, vcc_lo, v1
	v_and_b32_e32 v5, v5, v1
	v_lshlrev_b32_e32 v1, 28, v4
	v_cmp_gt_i64_e32 vcc, 0, v[0:1]
	v_not_b32_e32 v0, v1
	v_ashrrev_i32_e32 v0, 31, v0
	v_xor_b32_e32 v1, vcc_hi, v0
	v_xor_b32_e32 v0, vcc_lo, v0
	; wave barrier
	ds_read_b32 v31, v32 offset:16
	v_and_b32_e32 v33, v33, v34
	v_and_b32_e32 v0, v5, v0
	;; [unrolled: 1-line block ×3, first 2 shown]
	v_mbcnt_lo_u32_b32 v4, v0, 0
	v_mbcnt_hi_u32_b32 v33, v1, v4
	v_cmp_eq_u32_e32 vcc, 0, v33
	v_cmp_ne_u64_e64 s[0:1], 0, v[0:1]
	s_and_b64 s[10:11], vcc, s[0:1]
	; wave barrier
	s_and_saveexec_b64 s[0:1], s[10:11]
	s_cbranch_execz .LBB56_12
; %bb.11:
	v_bcnt_u32_b32 v0, v0, 0
	v_bcnt_u32_b32 v0, v1, v0
	s_waitcnt lgkmcnt(0)
	v_add_u32_e32 v0, v31, v0
	ds_write_b32 v32, v0 offset:16
.LBB56_12:
	s_or_b64 exec, exec, s[0:1]
	v_mov_b32_e32 v36, 0xffff8000
	v_cmp_lt_i16_e32 vcc, -1, v29
	v_cndmask_b32_e32 v0, -1, v36, vcc
	v_xor_b32_e32 v0, v0, v29
	s_movk_i32 s10, 0x7fff
	v_cmp_ne_u16_e32 vcc, s10, v0
	v_cndmask_b32_e32 v0, v36, v0, vcc
	v_lshlrev_b32_sdwa v0, s9, v0 dst_sel:DWORD dst_unused:UNUSED_PAD src0_sel:DWORD src1_sel:WORD_0
	v_bfe_u32 v1, v0, s8, 16
	v_cndmask_b32_e64 v4, v1, 0, s[4:5]
	v_mul_u32_u24_e32 v1, 5, v4
	v_add_lshl_u32 v34, v1, v18, 2
	v_and_b32_e32 v1, 1, v4
	v_add_co_u32_e32 v5, vcc, -1, v1
	v_addc_co_u32_e64 v35, s[0:1], 0, -1, vcc
	v_cmp_ne_u32_e32 vcc, 0, v1
	v_xor_b32_e32 v1, vcc_hi, v35
	v_mov_b32_e32 v0, 0
	v_and_b32_e32 v35, exec_hi, v1
	v_lshlrev_b32_e32 v1, 30, v4
	v_xor_b32_e32 v5, vcc_lo, v5
	v_cmp_gt_i64_e32 vcc, 0, v[0:1]
	v_not_b32_e32 v1, v1
	v_ashrrev_i32_e32 v1, 31, v1
	v_and_b32_e32 v5, exec_lo, v5
	v_xor_b32_e32 v37, vcc_hi, v1
	v_xor_b32_e32 v1, vcc_lo, v1
	v_and_b32_e32 v5, v5, v1
	v_lshlrev_b32_e32 v1, 29, v4
	v_cmp_gt_i64_e32 vcc, 0, v[0:1]
	v_not_b32_e32 v1, v1
	v_ashrrev_i32_e32 v1, 31, v1
	v_and_b32_e32 v35, v35, v37
	v_xor_b32_e32 v37, vcc_hi, v1
	v_xor_b32_e32 v1, vcc_lo, v1
	v_and_b32_e32 v35, v35, v37
	v_and_b32_e32 v37, v5, v1
	v_lshlrev_b32_e32 v1, 28, v4
	v_cmp_gt_i64_e32 vcc, 0, v[0:1]
	v_not_b32_e32 v1, v1
	v_ashrrev_i32_e32 v1, 31, v1
	v_xor_b32_e32 v4, vcc_hi, v1
	v_xor_b32_e32 v1, vcc_lo, v1
	; wave barrier
	ds_read_b32 v29, v34 offset:16
	v_and_b32_e32 v5, v35, v4
	v_and_b32_e32 v4, v37, v1
	v_mbcnt_lo_u32_b32 v1, v4, 0
	v_mbcnt_hi_u32_b32 v35, v5, v1
	v_cmp_eq_u32_e32 vcc, 0, v35
	v_cmp_ne_u64_e64 s[0:1], 0, v[4:5]
	s_and_b64 s[12:13], vcc, s[0:1]
	; wave barrier
	s_and_saveexec_b64 s[0:1], s[12:13]
	s_cbranch_execz .LBB56_14
; %bb.13:
	v_bcnt_u32_b32 v1, v4, 0
	v_bcnt_u32_b32 v1, v5, v1
	s_waitcnt lgkmcnt(0)
	v_add_u32_e32 v1, v29, v1
	ds_write_b32 v34, v1 offset:16
.LBB56_14:
	s_or_b64 exec, exec, s[0:1]
	v_cmp_lt_i16_e32 vcc, -1, v25
	v_cndmask_b32_e32 v1, -1, v36, vcc
	v_xor_b32_e32 v1, v1, v25
	v_cmp_ne_u16_e32 vcc, s10, v1
	v_cndmask_b32_e32 v1, v36, v1, vcc
	v_lshlrev_b32_sdwa v1, s9, v1 dst_sel:DWORD dst_unused:UNUSED_PAD src0_sel:DWORD src1_sel:WORD_0
	v_bfe_u32 v1, v1, s8, 16
	v_cndmask_b32_e64 v25, v1, 0, s[4:5]
	v_mul_u32_u24_e32 v1, 5, v25
	v_add_lshl_u32 v5, v1, v18, 2
	v_and_b32_e32 v1, 1, v25
	v_add_co_u32_e32 v36, vcc, -1, v1
	v_addc_co_u32_e64 v37, s[0:1], 0, -1, vcc
	v_cmp_ne_u32_e32 vcc, 0, v1
	v_xor_b32_e32 v1, vcc_hi, v37
	v_and_b32_e32 v37, exec_hi, v1
	v_lshlrev_b32_e32 v1, 30, v25
	v_xor_b32_e32 v36, vcc_lo, v36
	v_cmp_gt_i64_e32 vcc, 0, v[0:1]
	v_not_b32_e32 v1, v1
	v_ashrrev_i32_e32 v1, 31, v1
	v_and_b32_e32 v36, exec_lo, v36
	v_xor_b32_e32 v38, vcc_hi, v1
	v_xor_b32_e32 v1, vcc_lo, v1
	v_and_b32_e32 v36, v36, v1
	v_lshlrev_b32_e32 v1, 29, v25
	v_cmp_gt_i64_e32 vcc, 0, v[0:1]
	v_not_b32_e32 v1, v1
	v_ashrrev_i32_e32 v1, 31, v1
	v_and_b32_e32 v37, v37, v38
	v_xor_b32_e32 v38, vcc_hi, v1
	v_xor_b32_e32 v1, vcc_lo, v1
	v_and_b32_e32 v36, v36, v1
	v_lshlrev_b32_e32 v1, 28, v25
	v_cmp_gt_i64_e32 vcc, 0, v[0:1]
	v_not_b32_e32 v0, v1
	v_ashrrev_i32_e32 v0, 31, v0
	v_xor_b32_e32 v1, vcc_hi, v0
	v_xor_b32_e32 v0, vcc_lo, v0
	; wave barrier
	ds_read_b32 v4, v5 offset:16
	v_and_b32_e32 v37, v37, v38
	v_and_b32_e32 v0, v36, v0
	;; [unrolled: 1-line block ×3, first 2 shown]
	v_mbcnt_lo_u32_b32 v25, v0, 0
	v_mbcnt_hi_u32_b32 v25, v1, v25
	v_cmp_eq_u32_e32 vcc, 0, v25
	v_cmp_ne_u64_e64 s[0:1], 0, v[0:1]
	s_and_b64 s[10:11], vcc, s[0:1]
	; wave barrier
	s_and_saveexec_b64 s[0:1], s[10:11]
	s_cbranch_execz .LBB56_16
; %bb.15:
	v_bcnt_u32_b32 v0, v0, 0
	v_bcnt_u32_b32 v0, v1, v0
	s_waitcnt lgkmcnt(0)
	v_add_u32_e32 v0, v4, v0
	ds_write_b32 v5, v0 offset:16
.LBB56_16:
	s_or_b64 exec, exec, s[0:1]
	v_mov_b32_e32 v0, 0xffff8000
	v_cmp_lt_i16_e32 vcc, -1, v21
	v_cndmask_b32_e32 v1, -1, v0, vcc
	v_xor_b32_e32 v1, v1, v21
	s_movk_i32 s0, 0x7fff
	v_cmp_ne_u16_e32 vcc, s0, v1
	v_cndmask_b32_e32 v0, v0, v1, vcc
	v_lshlrev_b32_sdwa v0, s9, v0 dst_sel:DWORD dst_unused:UNUSED_PAD src0_sel:DWORD src1_sel:WORD_0
	v_bfe_u32 v1, v0, s8, 16
	v_cndmask_b32_e64 v36, v1, 0, s[4:5]
	v_mul_u32_u24_e32 v1, 5, v36
	v_add_lshl_u32 v21, v1, v18, 2
	v_and_b32_e32 v1, 1, v36
	v_add_co_u32_e32 v37, vcc, -1, v1
	v_addc_co_u32_e64 v38, s[0:1], 0, -1, vcc
	v_cmp_ne_u32_e32 vcc, 0, v1
	v_xor_b32_e32 v1, vcc_hi, v38
	v_mov_b32_e32 v0, 0
	v_and_b32_e32 v38, exec_hi, v1
	v_lshlrev_b32_e32 v1, 30, v36
	v_xor_b32_e32 v37, vcc_lo, v37
	v_cmp_gt_i64_e32 vcc, 0, v[0:1]
	v_not_b32_e32 v1, v1
	v_ashrrev_i32_e32 v1, 31, v1
	v_and_b32_e32 v37, exec_lo, v37
	v_xor_b32_e32 v39, vcc_hi, v1
	v_xor_b32_e32 v1, vcc_lo, v1
	v_and_b32_e32 v37, v37, v1
	v_lshlrev_b32_e32 v1, 29, v36
	v_cmp_gt_i64_e32 vcc, 0, v[0:1]
	v_not_b32_e32 v1, v1
	v_ashrrev_i32_e32 v1, 31, v1
	v_and_b32_e32 v38, v38, v39
	v_xor_b32_e32 v39, vcc_hi, v1
	v_xor_b32_e32 v1, vcc_lo, v1
	v_and_b32_e32 v37, v37, v1
	v_lshlrev_b32_e32 v1, 28, v36
	v_cmp_gt_i64_e32 vcc, 0, v[0:1]
	v_not_b32_e32 v0, v1
	v_ashrrev_i32_e32 v0, 31, v0
	v_xor_b32_e32 v1, vcc_hi, v0
	v_xor_b32_e32 v0, vcc_lo, v0
	; wave barrier
	ds_read_b32 v18, v21 offset:16
	v_and_b32_e32 v38, v38, v39
	v_and_b32_e32 v0, v37, v0
	;; [unrolled: 1-line block ×3, first 2 shown]
	v_mbcnt_lo_u32_b32 v36, v0, 0
	v_mbcnt_hi_u32_b32 v36, v1, v36
	v_cmp_eq_u32_e32 vcc, 0, v36
	v_cmp_ne_u64_e64 s[0:1], 0, v[0:1]
	s_and_b64 s[4:5], vcc, s[0:1]
	; wave barrier
	s_and_saveexec_b64 s[0:1], s[4:5]
	s_cbranch_execz .LBB56_18
; %bb.17:
	v_bcnt_u32_b32 v0, v0, 0
	v_bcnt_u32_b32 v0, v1, v0
	s_waitcnt lgkmcnt(0)
	v_add_u32_e32 v0, v18, v0
	ds_write_b32 v21, v0 offset:16
.LBB56_18:
	s_or_b64 exec, exec, s[0:1]
	; wave barrier
	s_waitcnt lgkmcnt(0)
	s_barrier
	ds_read_b32 v0, v10 offset:16
	v_and_b32_e32 v1, 15, v9
	v_cmp_ne_u32_e32 vcc, 0, v1
	s_waitcnt lgkmcnt(0)
	v_mov_b32_dpp v37, v0 row_shr:1 row_mask:0xf bank_mask:0xf
	v_cndmask_b32_e32 v37, 0, v37, vcc
	v_add_u32_e32 v0, v37, v0
	v_cmp_lt_u32_e32 vcc, 1, v1
	s_nop 0
	v_mov_b32_dpp v37, v0 row_shr:2 row_mask:0xf bank_mask:0xf
	v_cndmask_b32_e32 v37, 0, v37, vcc
	v_add_u32_e32 v0, v0, v37
	v_cmp_lt_u32_e32 vcc, 3, v1
	s_nop 0
	;; [unrolled: 5-line block ×3, first 2 shown]
	v_mov_b32_dpp v37, v0 row_shr:8 row_mask:0xf bank_mask:0xf
	v_cndmask_b32_e32 v1, 0, v37, vcc
	v_add_u32_e32 v0, v0, v1
	v_bfe_i32 v37, v9, 4, 1
	v_cmp_lt_u32_e32 vcc, 31, v9
	v_mov_b32_dpp v1, v0 row_bcast:15 row_mask:0xf bank_mask:0xf
	v_and_b32_e32 v1, v37, v1
	v_add_u32_e32 v0, v0, v1
	s_nop 1
	v_mov_b32_dpp v1, v0 row_bcast:31 row_mask:0xf bank_mask:0xf
	v_cndmask_b32_e32 v1, 0, v1, vcc
	v_add_u32_e32 v0, v0, v1
	v_min_u32_e32 v1, 0xaa, v12
	v_add_u32_e32 v1, 63, v1
	v_cmp_eq_u32_e32 vcc, v1, v2
	s_and_saveexec_b64 s[0:1], vcc
	s_xor_b64 s[0:1], exec, s[0:1]
	s_cbranch_execz .LBB56_20
; %bb.19:
	v_lshlrev_b32_e32 v1, 2, v11
	ds_write_b32 v1, v0
.LBB56_20:
	s_or_b64 exec, exec, s[0:1]
	v_cmp_gt_u32_e32 vcc, 4, v2
	s_waitcnt lgkmcnt(0)
	s_barrier
	s_and_saveexec_b64 s[0:1], vcc
	s_cbranch_execz .LBB56_22
; %bb.21:
	ds_read_b32 v1, v10
	v_and_b32_e32 v12, 3, v9
	v_cmp_ne_u32_e32 vcc, 0, v12
	s_waitcnt lgkmcnt(0)
	v_mov_b32_dpp v37, v1 row_shr:1 row_mask:0xf bank_mask:0xf
	v_cndmask_b32_e32 v37, 0, v37, vcc
	v_add_u32_e32 v1, v37, v1
	v_cmp_lt_u32_e32 vcc, 1, v12
	s_nop 0
	v_mov_b32_dpp v37, v1 row_shr:2 row_mask:0xf bank_mask:0xf
	v_cndmask_b32_e32 v12, 0, v37, vcc
	v_add_u32_e32 v1, v1, v12
	ds_write_b32 v10, v1
.LBB56_22:
	s_or_b64 exec, exec, s[0:1]
	v_cmp_lt_u32_e32 vcc, 63, v2
	v_mov_b32_e32 v1, 0
	s_waitcnt lgkmcnt(0)
	s_barrier
	s_and_saveexec_b64 s[0:1], vcc
	s_cbranch_execz .LBB56_24
; %bb.23:
	v_lshl_add_u32 v1, v11, 2, -4
	ds_read_b32 v1, v1
.LBB56_24:
	s_or_b64 exec, exec, s[0:1]
	v_add_u32_e32 v2, -1, v9
	v_and_b32_e32 v11, 64, v9
	v_cmp_lt_i32_e32 vcc, v2, v11
	v_cndmask_b32_e32 v2, v2, v9, vcc
	s_waitcnt lgkmcnt(0)
	v_add_u32_e32 v0, v1, v0
	v_lshlrev_b32_e32 v2, 2, v2
	ds_bpermute_b32 v0, v2, v0
	v_cmp_eq_u32_e32 vcc, 0, v9
	v_lshlrev_b32_e32 v8, 2, v8
	s_lshl_b64 s[0:1], s[6:7], 2
	s_add_u32 s0, s2, s0
	s_waitcnt lgkmcnt(0)
	v_cndmask_b32_e32 v0, v0, v1, vcc
	ds_write_b32 v10, v0 offset:16
	s_waitcnt lgkmcnt(0)
	s_barrier
	ds_read_b32 v0, v13 offset:16
	ds_read_b32 v1, v16 offset:16
	;; [unrolled: 1-line block ×8, first 2 shown]
	s_waitcnt lgkmcnt(7)
	v_add_u32_e32 v0, v0, v14
	ds_read_b32 v13, v21 offset:16
	s_waitcnt lgkmcnt(0)
	s_barrier
	ds_write_b32 v8, v0
	v_lshlrev_b32_e32 v0, 2, v7
	v_add3_u32 v1, v17, v15, v1
	v_add_u32_e32 v7, v8, v0
	v_add3_u32 v2, v22, v19, v2
	ds_write_b32 v7, v1
	v_add_u32_e32 v1, v7, v0
	v_add3_u32 v9, v26, v23, v9
	ds_write_b32 v1, v2
	;; [unrolled: 3-line block ×5, first 2 shown]
	v_add_u32_e32 v1, v1, v0
	ds_write_b32 v1, v12
	v_add_u32_e32 v1, v1, v0
	v_add3_u32 v4, v25, v4, v5
	v_add3_u32 v5, v36, v18, v13
	v_add_u32_e32 v0, v1, v0
	ds_write_b32 v0, v5
	v_lshlrev_b32_e32 v0, 2, v6
	ds_write_b32 v1, v4
	; wave barrier
	ds_read2_b32 v[4:5], v0 offset1:1
	ds_read2_b32 v[6:7], v0 offset0:2 offset1:3
	ds_read2_b32 v[8:9], v0 offset0:4 offset1:5
	;; [unrolled: 1-line block ×3, first 2 shown]
	ds_read_b32 v0, v0 offset:32
	s_addc_u32 s1, s3, s1
	v_lshlrev_b32_e32 v1, 2, v3
	s_waitcnt lgkmcnt(3)
	global_store_dwordx4 v1, v[4:7], s[0:1]
	s_waitcnt lgkmcnt(1)
	global_store_dwordx4 v1, v[8:11], s[0:1] offset:16
	s_waitcnt lgkmcnt(0)
	global_store_dword v1, v0, s[0:1] offset:32
	s_endpgm
	.section	.rodata,"a",@progbits
	.p2align	6, 0x0
	.amdhsa_kernel _Z11rank_kernelILj234ELj9ELj4ELb0EL18RadixRankAlgorithm2E12hip_bfloat16EvPKT4_Pijj
		.amdhsa_group_segment_fixed_size 8432
		.amdhsa_private_segment_fixed_size 0
		.amdhsa_kernarg_size 280
		.amdhsa_user_sgpr_count 6
		.amdhsa_user_sgpr_private_segment_buffer 1
		.amdhsa_user_sgpr_dispatch_ptr 0
		.amdhsa_user_sgpr_queue_ptr 0
		.amdhsa_user_sgpr_kernarg_segment_ptr 1
		.amdhsa_user_sgpr_dispatch_id 0
		.amdhsa_user_sgpr_flat_scratch_init 0
		.amdhsa_user_sgpr_kernarg_preload_length 0
		.amdhsa_user_sgpr_kernarg_preload_offset 0
		.amdhsa_user_sgpr_private_segment_size 0
		.amdhsa_uses_dynamic_stack 0
		.amdhsa_system_sgpr_private_segment_wavefront_offset 0
		.amdhsa_system_sgpr_workgroup_id_x 1
		.amdhsa_system_sgpr_workgroup_id_y 0
		.amdhsa_system_sgpr_workgroup_id_z 0
		.amdhsa_system_sgpr_workgroup_info 0
		.amdhsa_system_vgpr_workitem_id 2
		.amdhsa_next_free_vgpr 40
		.amdhsa_next_free_sgpr 14
		.amdhsa_accum_offset 40
		.amdhsa_reserve_vcc 1
		.amdhsa_reserve_flat_scratch 0
		.amdhsa_float_round_mode_32 0
		.amdhsa_float_round_mode_16_64 0
		.amdhsa_float_denorm_mode_32 3
		.amdhsa_float_denorm_mode_16_64 3
		.amdhsa_dx10_clamp 1
		.amdhsa_ieee_mode 1
		.amdhsa_fp16_overflow 0
		.amdhsa_tg_split 0
		.amdhsa_exception_fp_ieee_invalid_op 0
		.amdhsa_exception_fp_denorm_src 0
		.amdhsa_exception_fp_ieee_div_zero 0
		.amdhsa_exception_fp_ieee_overflow 0
		.amdhsa_exception_fp_ieee_underflow 0
		.amdhsa_exception_fp_ieee_inexact 0
		.amdhsa_exception_int_div_zero 0
	.end_amdhsa_kernel
	.section	.text._Z11rank_kernelILj234ELj9ELj4ELb0EL18RadixRankAlgorithm2E12hip_bfloat16EvPKT4_Pijj,"axG",@progbits,_Z11rank_kernelILj234ELj9ELj4ELb0EL18RadixRankAlgorithm2E12hip_bfloat16EvPKT4_Pijj,comdat
.Lfunc_end56:
	.size	_Z11rank_kernelILj234ELj9ELj4ELb0EL18RadixRankAlgorithm2E12hip_bfloat16EvPKT4_Pijj, .Lfunc_end56-_Z11rank_kernelILj234ELj9ELj4ELb0EL18RadixRankAlgorithm2E12hip_bfloat16EvPKT4_Pijj
                                        ; -- End function
	.section	.AMDGPU.csdata,"",@progbits
; Kernel info:
; codeLenInByte = 3696
; NumSgprs: 18
; NumVgprs: 40
; NumAgprs: 0
; TotalNumVgprs: 40
; ScratchSize: 0
; MemoryBound: 0
; FloatMode: 240
; IeeeMode: 1
; LDSByteSize: 8432 bytes/workgroup (compile time only)
; SGPRBlocks: 2
; VGPRBlocks: 4
; NumSGPRsForWavesPerEU: 18
; NumVGPRsForWavesPerEU: 40
; AccumOffset: 40
; Occupancy: 7
; WaveLimiterHint : 0
; COMPUTE_PGM_RSRC2:SCRATCH_EN: 0
; COMPUTE_PGM_RSRC2:USER_SGPR: 6
; COMPUTE_PGM_RSRC2:TRAP_HANDLER: 0
; COMPUTE_PGM_RSRC2:TGID_X_EN: 1
; COMPUTE_PGM_RSRC2:TGID_Y_EN: 0
; COMPUTE_PGM_RSRC2:TGID_Z_EN: 0
; COMPUTE_PGM_RSRC2:TIDIG_COMP_CNT: 2
; COMPUTE_PGM_RSRC3_GFX90A:ACCUM_OFFSET: 9
; COMPUTE_PGM_RSRC3_GFX90A:TG_SPLIT: 0
	.section	.text._Z11rank_kernelILj234ELj9ELj4ELb0EL18RadixRankAlgorithm2E6__halfEvPKT4_Pijj,"axG",@progbits,_Z11rank_kernelILj234ELj9ELj4ELb0EL18RadixRankAlgorithm2E6__halfEvPKT4_Pijj,comdat
	.protected	_Z11rank_kernelILj234ELj9ELj4ELb0EL18RadixRankAlgorithm2E6__halfEvPKT4_Pijj ; -- Begin function _Z11rank_kernelILj234ELj9ELj4ELb0EL18RadixRankAlgorithm2E6__halfEvPKT4_Pijj
	.globl	_Z11rank_kernelILj234ELj9ELj4ELb0EL18RadixRankAlgorithm2E6__halfEvPKT4_Pijj
	.p2align	8
	.type	_Z11rank_kernelILj234ELj9ELj4ELb0EL18RadixRankAlgorithm2E6__halfEvPKT4_Pijj,@function
_Z11rank_kernelILj234ELj9ELj4ELb0EL18RadixRankAlgorithm2E6__halfEvPKT4_Pijj: ; @_Z11rank_kernelILj234ELj9ELj4ELb0EL18RadixRankAlgorithm2E6__halfEvPKT4_Pijj
; %bb.0:
	s_load_dwordx4 s[0:3], s[4:5], 0x0
	s_load_dwordx2 s[8:9], s[4:5], 0x10
	s_mulk_i32 s6, 0x83a
	s_mov_b32 s7, 0
	v_and_b32_e32 v2, 0x3ff, v0
	s_lshl_b64 s[10:11], s[6:7], 1
	s_waitcnt lgkmcnt(0)
	s_add_u32 s0, s0, s10
	v_mul_u32_u24_e32 v3, 9, v2
	s_addc_u32 s1, s1, s11
	v_lshlrev_b32_e32 v1, 1, v3
	global_load_dwordx4 v[20:23], v1, s[0:1]
	global_load_ushort v5, v1, s[0:1] offset:16
	v_mbcnt_lo_u32_b32 v1, -1, 0
	s_movk_i32 s0, 0xc0
	v_and_b32_e32 v12, 0xc0, v2
	s_movk_i32 s1, 0x240
	s_load_dword s4, s[4:5], 0x24
	v_mbcnt_hi_u32_b32 v9, -1, v1
	v_lshrrev_b32_e32 v11, 6, v2
	v_cmp_eq_u32_e32 vcc, s0, v12
	v_cndmask_b32_e64 v7, 64, 42, vcc
	v_mad_u32_u24 v8, v11, s1, v9
	v_lshlrev_b32_e32 v13, 1, v8
	v_lshlrev_b32_e32 v14, 1, v7
	v_add_u32_e32 v17, v13, v14
	v_add_u32_e32 v19, v17, v14
	v_bfe_u32 v1, v0, 10, 10
	v_bfe_u32 v0, v0, 20, 10
	v_add_u32_e32 v24, v19, v14
	s_waitcnt lgkmcnt(0)
	s_lshr_b32 s0, s4, 16
	s_and_b32 s1, s4, 0xffff
	v_add_u32_e32 v25, v24, v14
	v_mad_u32_u24 v0, v0, s0, v1
	v_mul_u32_u24_e32 v6, 0x240, v11
	v_add_u32_e32 v26, v25, v14
	v_mad_u64_u32 v[0:1], s[0:1], v0, s1, v[2:3]
	v_mad_u32_u24 v6, v9, 9, v6
	v_add_u32_e32 v1, v26, v14
	v_lshlrev_b32_e32 v16, 1, v6
	v_lshrrev_b32_e32 v18, 6, v0
	v_add_u32_e32 v0, v1, v14
	v_mov_b32_e32 v15, 0xffff8000
	s_and_b32 s9, s9, 31
	v_add_u32_e32 v14, v0, v14
	s_cmp_eq_u32 s9, 0
	s_movk_i32 s10, 0x7fff
	s_cselect_b64 s[4:5], -1, 0
	s_and_b32 s0, s8, 31
	s_add_i32 s0, s0, s9
	s_sub_i32 s8, 32, s9
	s_sub_i32 s9, 32, s0
	v_mov_b32_e32 v4, 0
	v_lshlrev_b32_e32 v10, 2, v2
	s_waitcnt vmcnt(1)
	ds_write_b128 v16, v[20:23]
	s_waitcnt vmcnt(0)
	ds_write_b16 v16, v5 offset:16
	; wave barrier
	ds_read_u16 v5, v13
	ds_read_u16 v16, v17
	ds_read_u16 v19, v19
	ds_read_u16 v23, v24
	ds_read_u16 v27, v25
	ds_read_u16 v31, v26
	ds_read_u16 v29, v1
	ds_read_u16 v25, v0
	ds_read_u16 v21, v14
	s_waitcnt lgkmcnt(8)
	v_cmp_lt_i16_e32 vcc, -1, v5
	v_cndmask_b32_e32 v0, -1, v15, vcc
	v_xor_b32_e32 v0, v0, v5
	v_cmp_ne_u16_e32 vcc, s10, v0
	v_cndmask_b32_e32 v0, v15, v0, vcc
	v_lshlrev_b32_sdwa v0, s9, v0 dst_sel:DWORD dst_unused:UNUSED_PAD src0_sel:DWORD src1_sel:WORD_0
	v_bfe_u32 v0, v0, s8, 16
	v_cndmask_b32_e64 v0, v0, 0, s[4:5]
	v_mul_u32_u24_e32 v1, 5, v0
	v_and_b32_e32 v14, 1, v0
	v_add_lshl_u32 v13, v1, v18, 2
	v_add_co_u32_e32 v1, vcc, -1, v14
	v_lshlrev_b32_e32 v5, 30, v0
	v_addc_co_u32_e64 v17, s[0:1], 0, -1, vcc
	v_cmp_ne_u32_e32 vcc, 0, v14
	v_cmp_gt_i64_e64 s[0:1], 0, v[4:5]
	v_not_b32_e32 v5, v5
	v_xor_b32_e32 v1, vcc_lo, v1
	v_ashrrev_i32_e32 v5, 31, v5
	v_xor_b32_e32 v14, vcc_hi, v17
	v_and_b32_e32 v1, exec_lo, v1
	v_xor_b32_e32 v17, s1, v5
	v_xor_b32_e32 v5, s0, v5
	v_and_b32_e32 v1, v1, v5
	v_lshlrev_b32_e32 v5, 29, v0
	v_cmp_gt_i64_e32 vcc, 0, v[4:5]
	v_not_b32_e32 v5, v5
	v_and_b32_e32 v14, exec_hi, v14
	v_ashrrev_i32_e32 v5, 31, v5
	v_and_b32_e32 v14, v14, v17
	v_xor_b32_e32 v17, vcc_hi, v5
	v_xor_b32_e32 v5, vcc_lo, v5
	v_and_b32_e32 v14, v14, v17
	v_and_b32_e32 v17, v1, v5
	v_lshlrev_b32_e32 v5, 28, v0
	v_not_b32_e32 v0, v5
	v_cmp_gt_i64_e32 vcc, 0, v[4:5]
	v_ashrrev_i32_e32 v0, 31, v0
	v_xor_b32_e32 v1, vcc_hi, v0
	v_xor_b32_e32 v0, vcc_lo, v0
	v_and_b32_e32 v0, v17, v0
	v_and_b32_e32 v1, v14, v1
	v_mbcnt_lo_u32_b32 v5, v0, 0
	v_mbcnt_hi_u32_b32 v14, v1, v5
	v_cmp_eq_u32_e32 vcc, 0, v14
	v_cmp_ne_u64_e64 s[0:1], 0, v[0:1]
	s_and_b64 s[12:13], vcc, s[0:1]
	s_waitcnt lgkmcnt(0)
	s_barrier
	ds_write_b32 v10, v4 offset:16
	s_waitcnt lgkmcnt(0)
	s_barrier
	s_waitcnt lgkmcnt(0)
	; wave barrier
	s_and_saveexec_b64 s[0:1], s[12:13]
	s_cbranch_execz .LBB57_2
; %bb.1:
	v_bcnt_u32_b32 v0, v0, 0
	v_bcnt_u32_b32 v0, v1, v0
	ds_write_b32 v13, v0 offset:16
.LBB57_2:
	s_or_b64 exec, exec, s[0:1]
	v_cmp_lt_i16_e32 vcc, -1, v16
	v_cndmask_b32_e32 v0, -1, v15, vcc
	v_xor_b32_e32 v0, v0, v16
	v_cmp_ne_u16_e32 vcc, s10, v0
	v_cndmask_b32_e32 v0, v15, v0, vcc
	v_lshlrev_b32_sdwa v0, s9, v0 dst_sel:DWORD dst_unused:UNUSED_PAD src0_sel:DWORD src1_sel:WORD_0
	v_bfe_u32 v0, v0, s8, 16
	v_cndmask_b32_e64 v0, v0, 0, s[4:5]
	v_mul_u32_u24_e32 v1, 5, v0
	v_add_lshl_u32 v16, v1, v18, 2
	v_and_b32_e32 v1, 1, v0
	v_add_co_u32_e32 v5, vcc, -1, v1
	v_addc_co_u32_e64 v17, s[0:1], 0, -1, vcc
	v_cmp_ne_u32_e32 vcc, 0, v1
	v_xor_b32_e32 v5, vcc_lo, v5
	v_xor_b32_e32 v1, vcc_hi, v17
	v_and_b32_e32 v17, exec_lo, v5
	v_lshlrev_b32_e32 v5, 30, v0
	v_cmp_gt_i64_e32 vcc, 0, v[4:5]
	v_not_b32_e32 v5, v5
	v_ashrrev_i32_e32 v5, 31, v5
	v_xor_b32_e32 v20, vcc_hi, v5
	v_xor_b32_e32 v5, vcc_lo, v5
	v_and_b32_e32 v17, v17, v5
	v_lshlrev_b32_e32 v5, 29, v0
	v_cmp_gt_i64_e32 vcc, 0, v[4:5]
	v_not_b32_e32 v5, v5
	v_and_b32_e32 v1, exec_hi, v1
	v_ashrrev_i32_e32 v5, 31, v5
	v_and_b32_e32 v1, v1, v20
	v_xor_b32_e32 v20, vcc_hi, v5
	v_xor_b32_e32 v5, vcc_lo, v5
	v_and_b32_e32 v17, v17, v5
	v_lshlrev_b32_e32 v5, 28, v0
	v_not_b32_e32 v0, v5
	v_cmp_gt_i64_e32 vcc, 0, v[4:5]
	v_ashrrev_i32_e32 v0, 31, v0
	v_xor_b32_e32 v4, vcc_hi, v0
	v_xor_b32_e32 v0, vcc_lo, v0
	; wave barrier
	ds_read_b32 v15, v16 offset:16
	v_and_b32_e32 v1, v1, v20
	v_and_b32_e32 v0, v17, v0
	;; [unrolled: 1-line block ×3, first 2 shown]
	v_mbcnt_lo_u32_b32 v4, v0, 0
	v_mbcnt_hi_u32_b32 v17, v1, v4
	v_cmp_eq_u32_e32 vcc, 0, v17
	v_cmp_ne_u64_e64 s[0:1], 0, v[0:1]
	s_and_b64 s[10:11], vcc, s[0:1]
	; wave barrier
	s_and_saveexec_b64 s[0:1], s[10:11]
	s_cbranch_execz .LBB57_4
; %bb.3:
	v_bcnt_u32_b32 v0, v0, 0
	v_bcnt_u32_b32 v0, v1, v0
	s_waitcnt lgkmcnt(0)
	v_add_u32_e32 v0, v15, v0
	ds_write_b32 v16, v0 offset:16
.LBB57_4:
	s_or_b64 exec, exec, s[0:1]
	v_mov_b32_e32 v24, 0xffff8000
	v_cmp_lt_i16_e32 vcc, -1, v19
	v_cndmask_b32_e32 v0, -1, v24, vcc
	v_xor_b32_e32 v0, v0, v19
	s_movk_i32 s10, 0x7fff
	v_cmp_ne_u16_e32 vcc, s10, v0
	v_cndmask_b32_e32 v0, v24, v0, vcc
	v_lshlrev_b32_sdwa v0, s9, v0 dst_sel:DWORD dst_unused:UNUSED_PAD src0_sel:DWORD src1_sel:WORD_0
	v_bfe_u32 v1, v0, s8, 16
	v_cndmask_b32_e64 v4, v1, 0, s[4:5]
	v_mul_u32_u24_e32 v1, 5, v4
	v_add_lshl_u32 v20, v1, v18, 2
	v_and_b32_e32 v1, 1, v4
	v_add_co_u32_e32 v5, vcc, -1, v1
	v_addc_co_u32_e64 v22, s[0:1], 0, -1, vcc
	v_cmp_ne_u32_e32 vcc, 0, v1
	v_xor_b32_e32 v1, vcc_hi, v22
	v_mov_b32_e32 v0, 0
	v_and_b32_e32 v22, exec_hi, v1
	v_lshlrev_b32_e32 v1, 30, v4
	v_xor_b32_e32 v5, vcc_lo, v5
	v_cmp_gt_i64_e32 vcc, 0, v[0:1]
	v_not_b32_e32 v1, v1
	v_ashrrev_i32_e32 v1, 31, v1
	v_and_b32_e32 v5, exec_lo, v5
	v_xor_b32_e32 v26, vcc_hi, v1
	v_xor_b32_e32 v1, vcc_lo, v1
	v_and_b32_e32 v5, v5, v1
	v_lshlrev_b32_e32 v1, 29, v4
	v_cmp_gt_i64_e32 vcc, 0, v[0:1]
	v_not_b32_e32 v1, v1
	v_ashrrev_i32_e32 v1, 31, v1
	v_and_b32_e32 v22, v22, v26
	v_xor_b32_e32 v26, vcc_hi, v1
	v_xor_b32_e32 v1, vcc_lo, v1
	v_and_b32_e32 v22, v22, v26
	v_and_b32_e32 v26, v5, v1
	v_lshlrev_b32_e32 v1, 28, v4
	v_cmp_gt_i64_e32 vcc, 0, v[0:1]
	v_not_b32_e32 v1, v1
	v_ashrrev_i32_e32 v1, 31, v1
	v_xor_b32_e32 v4, vcc_hi, v1
	v_xor_b32_e32 v1, vcc_lo, v1
	; wave barrier
	ds_read_b32 v19, v20 offset:16
	v_and_b32_e32 v5, v22, v4
	v_and_b32_e32 v4, v26, v1
	v_mbcnt_lo_u32_b32 v1, v4, 0
	v_mbcnt_hi_u32_b32 v22, v5, v1
	v_cmp_eq_u32_e32 vcc, 0, v22
	v_cmp_ne_u64_e64 s[0:1], 0, v[4:5]
	s_and_b64 s[12:13], vcc, s[0:1]
	; wave barrier
	s_and_saveexec_b64 s[0:1], s[12:13]
	s_cbranch_execz .LBB57_6
; %bb.5:
	v_bcnt_u32_b32 v1, v4, 0
	v_bcnt_u32_b32 v1, v5, v1
	s_waitcnt lgkmcnt(0)
	v_add_u32_e32 v1, v19, v1
	ds_write_b32 v20, v1 offset:16
.LBB57_6:
	s_or_b64 exec, exec, s[0:1]
	v_cmp_lt_i16_e32 vcc, -1, v23
	v_cndmask_b32_e32 v1, -1, v24, vcc
	v_xor_b32_e32 v1, v1, v23
	v_cmp_ne_u16_e32 vcc, s10, v1
	v_cndmask_b32_e32 v1, v24, v1, vcc
	v_lshlrev_b32_sdwa v1, s9, v1 dst_sel:DWORD dst_unused:UNUSED_PAD src0_sel:DWORD src1_sel:WORD_0
	v_bfe_u32 v1, v1, s8, 16
	v_cndmask_b32_e64 v4, v1, 0, s[4:5]
	v_mul_u32_u24_e32 v1, 5, v4
	v_add_lshl_u32 v24, v1, v18, 2
	v_and_b32_e32 v1, 1, v4
	v_add_co_u32_e32 v5, vcc, -1, v1
	v_addc_co_u32_e64 v26, s[0:1], 0, -1, vcc
	v_cmp_ne_u32_e32 vcc, 0, v1
	v_xor_b32_e32 v1, vcc_hi, v26
	v_and_b32_e32 v26, exec_hi, v1
	v_lshlrev_b32_e32 v1, 30, v4
	v_xor_b32_e32 v5, vcc_lo, v5
	v_cmp_gt_i64_e32 vcc, 0, v[0:1]
	v_not_b32_e32 v1, v1
	v_ashrrev_i32_e32 v1, 31, v1
	v_and_b32_e32 v5, exec_lo, v5
	v_xor_b32_e32 v28, vcc_hi, v1
	v_xor_b32_e32 v1, vcc_lo, v1
	v_and_b32_e32 v5, v5, v1
	v_lshlrev_b32_e32 v1, 29, v4
	v_cmp_gt_i64_e32 vcc, 0, v[0:1]
	v_not_b32_e32 v1, v1
	v_ashrrev_i32_e32 v1, 31, v1
	v_and_b32_e32 v26, v26, v28
	v_xor_b32_e32 v28, vcc_hi, v1
	v_xor_b32_e32 v1, vcc_lo, v1
	v_and_b32_e32 v5, v5, v1
	v_lshlrev_b32_e32 v1, 28, v4
	v_cmp_gt_i64_e32 vcc, 0, v[0:1]
	v_not_b32_e32 v0, v1
	v_ashrrev_i32_e32 v0, 31, v0
	v_xor_b32_e32 v1, vcc_hi, v0
	v_xor_b32_e32 v0, vcc_lo, v0
	; wave barrier
	ds_read_b32 v23, v24 offset:16
	v_and_b32_e32 v26, v26, v28
	v_and_b32_e32 v0, v5, v0
	;; [unrolled: 1-line block ×3, first 2 shown]
	v_mbcnt_lo_u32_b32 v4, v0, 0
	v_mbcnt_hi_u32_b32 v26, v1, v4
	v_cmp_eq_u32_e32 vcc, 0, v26
	v_cmp_ne_u64_e64 s[0:1], 0, v[0:1]
	s_and_b64 s[10:11], vcc, s[0:1]
	; wave barrier
	s_and_saveexec_b64 s[0:1], s[10:11]
	s_cbranch_execz .LBB57_8
; %bb.7:
	v_bcnt_u32_b32 v0, v0, 0
	v_bcnt_u32_b32 v0, v1, v0
	s_waitcnt lgkmcnt(0)
	v_add_u32_e32 v0, v23, v0
	ds_write_b32 v24, v0 offset:16
.LBB57_8:
	s_or_b64 exec, exec, s[0:1]
	v_mov_b32_e32 v32, 0xffff8000
	v_cmp_lt_i16_e32 vcc, -1, v27
	v_cndmask_b32_e32 v0, -1, v32, vcc
	v_xor_b32_e32 v0, v0, v27
	s_movk_i32 s10, 0x7fff
	v_cmp_ne_u16_e32 vcc, s10, v0
	v_cndmask_b32_e32 v0, v32, v0, vcc
	v_lshlrev_b32_sdwa v0, s9, v0 dst_sel:DWORD dst_unused:UNUSED_PAD src0_sel:DWORD src1_sel:WORD_0
	v_bfe_u32 v1, v0, s8, 16
	v_cndmask_b32_e64 v4, v1, 0, s[4:5]
	v_mul_u32_u24_e32 v1, 5, v4
	v_add_lshl_u32 v28, v1, v18, 2
	v_and_b32_e32 v1, 1, v4
	v_add_co_u32_e32 v5, vcc, -1, v1
	v_addc_co_u32_e64 v30, s[0:1], 0, -1, vcc
	v_cmp_ne_u32_e32 vcc, 0, v1
	v_xor_b32_e32 v1, vcc_hi, v30
	v_mov_b32_e32 v0, 0
	v_and_b32_e32 v30, exec_hi, v1
	v_lshlrev_b32_e32 v1, 30, v4
	v_xor_b32_e32 v5, vcc_lo, v5
	v_cmp_gt_i64_e32 vcc, 0, v[0:1]
	v_not_b32_e32 v1, v1
	v_ashrrev_i32_e32 v1, 31, v1
	v_and_b32_e32 v5, exec_lo, v5
	v_xor_b32_e32 v33, vcc_hi, v1
	v_xor_b32_e32 v1, vcc_lo, v1
	v_and_b32_e32 v5, v5, v1
	v_lshlrev_b32_e32 v1, 29, v4
	v_cmp_gt_i64_e32 vcc, 0, v[0:1]
	v_not_b32_e32 v1, v1
	v_ashrrev_i32_e32 v1, 31, v1
	v_and_b32_e32 v30, v30, v33
	v_xor_b32_e32 v33, vcc_hi, v1
	v_xor_b32_e32 v1, vcc_lo, v1
	v_and_b32_e32 v30, v30, v33
	v_and_b32_e32 v33, v5, v1
	v_lshlrev_b32_e32 v1, 28, v4
	v_cmp_gt_i64_e32 vcc, 0, v[0:1]
	v_not_b32_e32 v1, v1
	v_ashrrev_i32_e32 v1, 31, v1
	v_xor_b32_e32 v4, vcc_hi, v1
	v_xor_b32_e32 v1, vcc_lo, v1
	; wave barrier
	ds_read_b32 v27, v28 offset:16
	v_and_b32_e32 v5, v30, v4
	v_and_b32_e32 v4, v33, v1
	v_mbcnt_lo_u32_b32 v1, v4, 0
	v_mbcnt_hi_u32_b32 v30, v5, v1
	v_cmp_eq_u32_e32 vcc, 0, v30
	v_cmp_ne_u64_e64 s[0:1], 0, v[4:5]
	s_and_b64 s[12:13], vcc, s[0:1]
	; wave barrier
	s_and_saveexec_b64 s[0:1], s[12:13]
	s_cbranch_execz .LBB57_10
; %bb.9:
	v_bcnt_u32_b32 v1, v4, 0
	v_bcnt_u32_b32 v1, v5, v1
	s_waitcnt lgkmcnt(0)
	v_add_u32_e32 v1, v27, v1
	ds_write_b32 v28, v1 offset:16
.LBB57_10:
	s_or_b64 exec, exec, s[0:1]
	v_cmp_lt_i16_e32 vcc, -1, v31
	v_cndmask_b32_e32 v1, -1, v32, vcc
	v_xor_b32_e32 v1, v1, v31
	v_cmp_ne_u16_e32 vcc, s10, v1
	v_cndmask_b32_e32 v1, v32, v1, vcc
	v_lshlrev_b32_sdwa v1, s9, v1 dst_sel:DWORD dst_unused:UNUSED_PAD src0_sel:DWORD src1_sel:WORD_0
	v_bfe_u32 v1, v1, s8, 16
	v_cndmask_b32_e64 v4, v1, 0, s[4:5]
	v_mul_u32_u24_e32 v1, 5, v4
	v_add_lshl_u32 v32, v1, v18, 2
	v_and_b32_e32 v1, 1, v4
	v_add_co_u32_e32 v5, vcc, -1, v1
	v_addc_co_u32_e64 v33, s[0:1], 0, -1, vcc
	v_cmp_ne_u32_e32 vcc, 0, v1
	v_xor_b32_e32 v1, vcc_hi, v33
	v_and_b32_e32 v33, exec_hi, v1
	v_lshlrev_b32_e32 v1, 30, v4
	v_xor_b32_e32 v5, vcc_lo, v5
	v_cmp_gt_i64_e32 vcc, 0, v[0:1]
	v_not_b32_e32 v1, v1
	v_ashrrev_i32_e32 v1, 31, v1
	v_and_b32_e32 v5, exec_lo, v5
	v_xor_b32_e32 v34, vcc_hi, v1
	v_xor_b32_e32 v1, vcc_lo, v1
	v_and_b32_e32 v5, v5, v1
	v_lshlrev_b32_e32 v1, 29, v4
	v_cmp_gt_i64_e32 vcc, 0, v[0:1]
	v_not_b32_e32 v1, v1
	v_ashrrev_i32_e32 v1, 31, v1
	v_and_b32_e32 v33, v33, v34
	v_xor_b32_e32 v34, vcc_hi, v1
	v_xor_b32_e32 v1, vcc_lo, v1
	v_and_b32_e32 v5, v5, v1
	v_lshlrev_b32_e32 v1, 28, v4
	v_cmp_gt_i64_e32 vcc, 0, v[0:1]
	v_not_b32_e32 v0, v1
	v_ashrrev_i32_e32 v0, 31, v0
	v_xor_b32_e32 v1, vcc_hi, v0
	v_xor_b32_e32 v0, vcc_lo, v0
	; wave barrier
	ds_read_b32 v31, v32 offset:16
	v_and_b32_e32 v33, v33, v34
	v_and_b32_e32 v0, v5, v0
	;; [unrolled: 1-line block ×3, first 2 shown]
	v_mbcnt_lo_u32_b32 v4, v0, 0
	v_mbcnt_hi_u32_b32 v33, v1, v4
	v_cmp_eq_u32_e32 vcc, 0, v33
	v_cmp_ne_u64_e64 s[0:1], 0, v[0:1]
	s_and_b64 s[10:11], vcc, s[0:1]
	; wave barrier
	s_and_saveexec_b64 s[0:1], s[10:11]
	s_cbranch_execz .LBB57_12
; %bb.11:
	v_bcnt_u32_b32 v0, v0, 0
	v_bcnt_u32_b32 v0, v1, v0
	s_waitcnt lgkmcnt(0)
	v_add_u32_e32 v0, v31, v0
	ds_write_b32 v32, v0 offset:16
.LBB57_12:
	s_or_b64 exec, exec, s[0:1]
	v_mov_b32_e32 v36, 0xffff8000
	v_cmp_lt_i16_e32 vcc, -1, v29
	v_cndmask_b32_e32 v0, -1, v36, vcc
	v_xor_b32_e32 v0, v0, v29
	s_movk_i32 s10, 0x7fff
	v_cmp_ne_u16_e32 vcc, s10, v0
	v_cndmask_b32_e32 v0, v36, v0, vcc
	v_lshlrev_b32_sdwa v0, s9, v0 dst_sel:DWORD dst_unused:UNUSED_PAD src0_sel:DWORD src1_sel:WORD_0
	v_bfe_u32 v1, v0, s8, 16
	v_cndmask_b32_e64 v4, v1, 0, s[4:5]
	v_mul_u32_u24_e32 v1, 5, v4
	v_add_lshl_u32 v34, v1, v18, 2
	v_and_b32_e32 v1, 1, v4
	v_add_co_u32_e32 v5, vcc, -1, v1
	v_addc_co_u32_e64 v35, s[0:1], 0, -1, vcc
	v_cmp_ne_u32_e32 vcc, 0, v1
	v_xor_b32_e32 v1, vcc_hi, v35
	v_mov_b32_e32 v0, 0
	v_and_b32_e32 v35, exec_hi, v1
	v_lshlrev_b32_e32 v1, 30, v4
	v_xor_b32_e32 v5, vcc_lo, v5
	v_cmp_gt_i64_e32 vcc, 0, v[0:1]
	v_not_b32_e32 v1, v1
	v_ashrrev_i32_e32 v1, 31, v1
	v_and_b32_e32 v5, exec_lo, v5
	v_xor_b32_e32 v37, vcc_hi, v1
	v_xor_b32_e32 v1, vcc_lo, v1
	v_and_b32_e32 v5, v5, v1
	v_lshlrev_b32_e32 v1, 29, v4
	v_cmp_gt_i64_e32 vcc, 0, v[0:1]
	v_not_b32_e32 v1, v1
	v_ashrrev_i32_e32 v1, 31, v1
	v_and_b32_e32 v35, v35, v37
	v_xor_b32_e32 v37, vcc_hi, v1
	v_xor_b32_e32 v1, vcc_lo, v1
	v_and_b32_e32 v35, v35, v37
	v_and_b32_e32 v37, v5, v1
	v_lshlrev_b32_e32 v1, 28, v4
	v_cmp_gt_i64_e32 vcc, 0, v[0:1]
	v_not_b32_e32 v1, v1
	v_ashrrev_i32_e32 v1, 31, v1
	v_xor_b32_e32 v4, vcc_hi, v1
	v_xor_b32_e32 v1, vcc_lo, v1
	; wave barrier
	ds_read_b32 v29, v34 offset:16
	v_and_b32_e32 v5, v35, v4
	v_and_b32_e32 v4, v37, v1
	v_mbcnt_lo_u32_b32 v1, v4, 0
	v_mbcnt_hi_u32_b32 v35, v5, v1
	v_cmp_eq_u32_e32 vcc, 0, v35
	v_cmp_ne_u64_e64 s[0:1], 0, v[4:5]
	s_and_b64 s[12:13], vcc, s[0:1]
	; wave barrier
	s_and_saveexec_b64 s[0:1], s[12:13]
	s_cbranch_execz .LBB57_14
; %bb.13:
	v_bcnt_u32_b32 v1, v4, 0
	v_bcnt_u32_b32 v1, v5, v1
	s_waitcnt lgkmcnt(0)
	v_add_u32_e32 v1, v29, v1
	ds_write_b32 v34, v1 offset:16
.LBB57_14:
	s_or_b64 exec, exec, s[0:1]
	v_cmp_lt_i16_e32 vcc, -1, v25
	v_cndmask_b32_e32 v1, -1, v36, vcc
	v_xor_b32_e32 v1, v1, v25
	v_cmp_ne_u16_e32 vcc, s10, v1
	v_cndmask_b32_e32 v1, v36, v1, vcc
	v_lshlrev_b32_sdwa v1, s9, v1 dst_sel:DWORD dst_unused:UNUSED_PAD src0_sel:DWORD src1_sel:WORD_0
	v_bfe_u32 v1, v1, s8, 16
	v_cndmask_b32_e64 v25, v1, 0, s[4:5]
	v_mul_u32_u24_e32 v1, 5, v25
	v_add_lshl_u32 v5, v1, v18, 2
	v_and_b32_e32 v1, 1, v25
	v_add_co_u32_e32 v36, vcc, -1, v1
	v_addc_co_u32_e64 v37, s[0:1], 0, -1, vcc
	v_cmp_ne_u32_e32 vcc, 0, v1
	v_xor_b32_e32 v1, vcc_hi, v37
	v_and_b32_e32 v37, exec_hi, v1
	v_lshlrev_b32_e32 v1, 30, v25
	v_xor_b32_e32 v36, vcc_lo, v36
	v_cmp_gt_i64_e32 vcc, 0, v[0:1]
	v_not_b32_e32 v1, v1
	v_ashrrev_i32_e32 v1, 31, v1
	v_and_b32_e32 v36, exec_lo, v36
	v_xor_b32_e32 v38, vcc_hi, v1
	v_xor_b32_e32 v1, vcc_lo, v1
	v_and_b32_e32 v36, v36, v1
	v_lshlrev_b32_e32 v1, 29, v25
	v_cmp_gt_i64_e32 vcc, 0, v[0:1]
	v_not_b32_e32 v1, v1
	v_ashrrev_i32_e32 v1, 31, v1
	v_and_b32_e32 v37, v37, v38
	v_xor_b32_e32 v38, vcc_hi, v1
	v_xor_b32_e32 v1, vcc_lo, v1
	v_and_b32_e32 v36, v36, v1
	v_lshlrev_b32_e32 v1, 28, v25
	v_cmp_gt_i64_e32 vcc, 0, v[0:1]
	v_not_b32_e32 v0, v1
	v_ashrrev_i32_e32 v0, 31, v0
	v_xor_b32_e32 v1, vcc_hi, v0
	v_xor_b32_e32 v0, vcc_lo, v0
	; wave barrier
	ds_read_b32 v4, v5 offset:16
	v_and_b32_e32 v37, v37, v38
	v_and_b32_e32 v0, v36, v0
	;; [unrolled: 1-line block ×3, first 2 shown]
	v_mbcnt_lo_u32_b32 v25, v0, 0
	v_mbcnt_hi_u32_b32 v25, v1, v25
	v_cmp_eq_u32_e32 vcc, 0, v25
	v_cmp_ne_u64_e64 s[0:1], 0, v[0:1]
	s_and_b64 s[10:11], vcc, s[0:1]
	; wave barrier
	s_and_saveexec_b64 s[0:1], s[10:11]
	s_cbranch_execz .LBB57_16
; %bb.15:
	v_bcnt_u32_b32 v0, v0, 0
	v_bcnt_u32_b32 v0, v1, v0
	s_waitcnt lgkmcnt(0)
	v_add_u32_e32 v0, v4, v0
	ds_write_b32 v5, v0 offset:16
.LBB57_16:
	s_or_b64 exec, exec, s[0:1]
	v_mov_b32_e32 v0, 0xffff8000
	v_cmp_lt_i16_e32 vcc, -1, v21
	v_cndmask_b32_e32 v1, -1, v0, vcc
	v_xor_b32_e32 v1, v1, v21
	s_movk_i32 s0, 0x7fff
	v_cmp_ne_u16_e32 vcc, s0, v1
	v_cndmask_b32_e32 v0, v0, v1, vcc
	v_lshlrev_b32_sdwa v0, s9, v0 dst_sel:DWORD dst_unused:UNUSED_PAD src0_sel:DWORD src1_sel:WORD_0
	v_bfe_u32 v1, v0, s8, 16
	v_cndmask_b32_e64 v36, v1, 0, s[4:5]
	v_mul_u32_u24_e32 v1, 5, v36
	v_add_lshl_u32 v21, v1, v18, 2
	v_and_b32_e32 v1, 1, v36
	v_add_co_u32_e32 v37, vcc, -1, v1
	v_addc_co_u32_e64 v38, s[0:1], 0, -1, vcc
	v_cmp_ne_u32_e32 vcc, 0, v1
	v_xor_b32_e32 v1, vcc_hi, v38
	v_mov_b32_e32 v0, 0
	v_and_b32_e32 v38, exec_hi, v1
	v_lshlrev_b32_e32 v1, 30, v36
	v_xor_b32_e32 v37, vcc_lo, v37
	v_cmp_gt_i64_e32 vcc, 0, v[0:1]
	v_not_b32_e32 v1, v1
	v_ashrrev_i32_e32 v1, 31, v1
	v_and_b32_e32 v37, exec_lo, v37
	v_xor_b32_e32 v39, vcc_hi, v1
	v_xor_b32_e32 v1, vcc_lo, v1
	v_and_b32_e32 v37, v37, v1
	v_lshlrev_b32_e32 v1, 29, v36
	v_cmp_gt_i64_e32 vcc, 0, v[0:1]
	v_not_b32_e32 v1, v1
	v_ashrrev_i32_e32 v1, 31, v1
	v_and_b32_e32 v38, v38, v39
	v_xor_b32_e32 v39, vcc_hi, v1
	v_xor_b32_e32 v1, vcc_lo, v1
	v_and_b32_e32 v37, v37, v1
	v_lshlrev_b32_e32 v1, 28, v36
	v_cmp_gt_i64_e32 vcc, 0, v[0:1]
	v_not_b32_e32 v0, v1
	v_ashrrev_i32_e32 v0, 31, v0
	v_xor_b32_e32 v1, vcc_hi, v0
	v_xor_b32_e32 v0, vcc_lo, v0
	; wave barrier
	ds_read_b32 v18, v21 offset:16
	v_and_b32_e32 v38, v38, v39
	v_and_b32_e32 v0, v37, v0
	;; [unrolled: 1-line block ×3, first 2 shown]
	v_mbcnt_lo_u32_b32 v36, v0, 0
	v_mbcnt_hi_u32_b32 v36, v1, v36
	v_cmp_eq_u32_e32 vcc, 0, v36
	v_cmp_ne_u64_e64 s[0:1], 0, v[0:1]
	s_and_b64 s[4:5], vcc, s[0:1]
	; wave barrier
	s_and_saveexec_b64 s[0:1], s[4:5]
	s_cbranch_execz .LBB57_18
; %bb.17:
	v_bcnt_u32_b32 v0, v0, 0
	v_bcnt_u32_b32 v0, v1, v0
	s_waitcnt lgkmcnt(0)
	v_add_u32_e32 v0, v18, v0
	ds_write_b32 v21, v0 offset:16
.LBB57_18:
	s_or_b64 exec, exec, s[0:1]
	; wave barrier
	s_waitcnt lgkmcnt(0)
	s_barrier
	ds_read_b32 v0, v10 offset:16
	v_and_b32_e32 v1, 15, v9
	v_cmp_ne_u32_e32 vcc, 0, v1
	s_waitcnt lgkmcnt(0)
	v_mov_b32_dpp v37, v0 row_shr:1 row_mask:0xf bank_mask:0xf
	v_cndmask_b32_e32 v37, 0, v37, vcc
	v_add_u32_e32 v0, v37, v0
	v_cmp_lt_u32_e32 vcc, 1, v1
	s_nop 0
	v_mov_b32_dpp v37, v0 row_shr:2 row_mask:0xf bank_mask:0xf
	v_cndmask_b32_e32 v37, 0, v37, vcc
	v_add_u32_e32 v0, v0, v37
	v_cmp_lt_u32_e32 vcc, 3, v1
	s_nop 0
	;; [unrolled: 5-line block ×3, first 2 shown]
	v_mov_b32_dpp v37, v0 row_shr:8 row_mask:0xf bank_mask:0xf
	v_cndmask_b32_e32 v1, 0, v37, vcc
	v_add_u32_e32 v0, v0, v1
	v_bfe_i32 v37, v9, 4, 1
	v_cmp_lt_u32_e32 vcc, 31, v9
	v_mov_b32_dpp v1, v0 row_bcast:15 row_mask:0xf bank_mask:0xf
	v_and_b32_e32 v1, v37, v1
	v_add_u32_e32 v0, v0, v1
	s_nop 1
	v_mov_b32_dpp v1, v0 row_bcast:31 row_mask:0xf bank_mask:0xf
	v_cndmask_b32_e32 v1, 0, v1, vcc
	v_add_u32_e32 v0, v0, v1
	v_min_u32_e32 v1, 0xaa, v12
	v_add_u32_e32 v1, 63, v1
	v_cmp_eq_u32_e32 vcc, v1, v2
	s_and_saveexec_b64 s[0:1], vcc
	s_xor_b64 s[0:1], exec, s[0:1]
	s_cbranch_execz .LBB57_20
; %bb.19:
	v_lshlrev_b32_e32 v1, 2, v11
	ds_write_b32 v1, v0
.LBB57_20:
	s_or_b64 exec, exec, s[0:1]
	v_cmp_gt_u32_e32 vcc, 4, v2
	s_waitcnt lgkmcnt(0)
	s_barrier
	s_and_saveexec_b64 s[0:1], vcc
	s_cbranch_execz .LBB57_22
; %bb.21:
	ds_read_b32 v1, v10
	v_and_b32_e32 v12, 3, v9
	v_cmp_ne_u32_e32 vcc, 0, v12
	s_waitcnt lgkmcnt(0)
	v_mov_b32_dpp v37, v1 row_shr:1 row_mask:0xf bank_mask:0xf
	v_cndmask_b32_e32 v37, 0, v37, vcc
	v_add_u32_e32 v1, v37, v1
	v_cmp_lt_u32_e32 vcc, 1, v12
	s_nop 0
	v_mov_b32_dpp v37, v1 row_shr:2 row_mask:0xf bank_mask:0xf
	v_cndmask_b32_e32 v12, 0, v37, vcc
	v_add_u32_e32 v1, v1, v12
	ds_write_b32 v10, v1
.LBB57_22:
	s_or_b64 exec, exec, s[0:1]
	v_cmp_lt_u32_e32 vcc, 63, v2
	v_mov_b32_e32 v1, 0
	s_waitcnt lgkmcnt(0)
	s_barrier
	s_and_saveexec_b64 s[0:1], vcc
	s_cbranch_execz .LBB57_24
; %bb.23:
	v_lshl_add_u32 v1, v11, 2, -4
	ds_read_b32 v1, v1
.LBB57_24:
	s_or_b64 exec, exec, s[0:1]
	v_add_u32_e32 v2, -1, v9
	v_and_b32_e32 v11, 64, v9
	v_cmp_lt_i32_e32 vcc, v2, v11
	v_cndmask_b32_e32 v2, v2, v9, vcc
	s_waitcnt lgkmcnt(0)
	v_add_u32_e32 v0, v1, v0
	v_lshlrev_b32_e32 v2, 2, v2
	ds_bpermute_b32 v0, v2, v0
	v_cmp_eq_u32_e32 vcc, 0, v9
	v_lshlrev_b32_e32 v8, 2, v8
	s_lshl_b64 s[0:1], s[6:7], 2
	s_add_u32 s0, s2, s0
	s_waitcnt lgkmcnt(0)
	v_cndmask_b32_e32 v0, v0, v1, vcc
	ds_write_b32 v10, v0 offset:16
	s_waitcnt lgkmcnt(0)
	s_barrier
	ds_read_b32 v0, v13 offset:16
	ds_read_b32 v1, v16 offset:16
	;; [unrolled: 1-line block ×8, first 2 shown]
	s_waitcnt lgkmcnt(7)
	v_add_u32_e32 v0, v0, v14
	ds_read_b32 v13, v21 offset:16
	s_waitcnt lgkmcnt(0)
	s_barrier
	ds_write_b32 v8, v0
	v_lshlrev_b32_e32 v0, 2, v7
	v_add3_u32 v1, v17, v15, v1
	v_add_u32_e32 v7, v8, v0
	v_add3_u32 v2, v22, v19, v2
	ds_write_b32 v7, v1
	v_add_u32_e32 v1, v7, v0
	v_add3_u32 v9, v26, v23, v9
	ds_write_b32 v1, v2
	;; [unrolled: 3-line block ×5, first 2 shown]
	v_add_u32_e32 v1, v1, v0
	ds_write_b32 v1, v12
	v_add_u32_e32 v1, v1, v0
	v_add3_u32 v4, v25, v4, v5
	v_add3_u32 v5, v36, v18, v13
	v_add_u32_e32 v0, v1, v0
	ds_write_b32 v0, v5
	v_lshlrev_b32_e32 v0, 2, v6
	ds_write_b32 v1, v4
	; wave barrier
	ds_read2_b32 v[4:5], v0 offset1:1
	ds_read2_b32 v[6:7], v0 offset0:2 offset1:3
	ds_read2_b32 v[8:9], v0 offset0:4 offset1:5
	;; [unrolled: 1-line block ×3, first 2 shown]
	ds_read_b32 v0, v0 offset:32
	s_addc_u32 s1, s3, s1
	v_lshlrev_b32_e32 v1, 2, v3
	s_waitcnt lgkmcnt(3)
	global_store_dwordx4 v1, v[4:7], s[0:1]
	s_waitcnt lgkmcnt(1)
	global_store_dwordx4 v1, v[8:11], s[0:1] offset:16
	s_waitcnt lgkmcnt(0)
	global_store_dword v1, v0, s[0:1] offset:32
	s_endpgm
	.section	.rodata,"a",@progbits
	.p2align	6, 0x0
	.amdhsa_kernel _Z11rank_kernelILj234ELj9ELj4ELb0EL18RadixRankAlgorithm2E6__halfEvPKT4_Pijj
		.amdhsa_group_segment_fixed_size 8432
		.amdhsa_private_segment_fixed_size 0
		.amdhsa_kernarg_size 280
		.amdhsa_user_sgpr_count 6
		.amdhsa_user_sgpr_private_segment_buffer 1
		.amdhsa_user_sgpr_dispatch_ptr 0
		.amdhsa_user_sgpr_queue_ptr 0
		.amdhsa_user_sgpr_kernarg_segment_ptr 1
		.amdhsa_user_sgpr_dispatch_id 0
		.amdhsa_user_sgpr_flat_scratch_init 0
		.amdhsa_user_sgpr_kernarg_preload_length 0
		.amdhsa_user_sgpr_kernarg_preload_offset 0
		.amdhsa_user_sgpr_private_segment_size 0
		.amdhsa_uses_dynamic_stack 0
		.amdhsa_system_sgpr_private_segment_wavefront_offset 0
		.amdhsa_system_sgpr_workgroup_id_x 1
		.amdhsa_system_sgpr_workgroup_id_y 0
		.amdhsa_system_sgpr_workgroup_id_z 0
		.amdhsa_system_sgpr_workgroup_info 0
		.amdhsa_system_vgpr_workitem_id 2
		.amdhsa_next_free_vgpr 40
		.amdhsa_next_free_sgpr 14
		.amdhsa_accum_offset 40
		.amdhsa_reserve_vcc 1
		.amdhsa_reserve_flat_scratch 0
		.amdhsa_float_round_mode_32 0
		.amdhsa_float_round_mode_16_64 0
		.amdhsa_float_denorm_mode_32 3
		.amdhsa_float_denorm_mode_16_64 3
		.amdhsa_dx10_clamp 1
		.amdhsa_ieee_mode 1
		.amdhsa_fp16_overflow 0
		.amdhsa_tg_split 0
		.amdhsa_exception_fp_ieee_invalid_op 0
		.amdhsa_exception_fp_denorm_src 0
		.amdhsa_exception_fp_ieee_div_zero 0
		.amdhsa_exception_fp_ieee_overflow 0
		.amdhsa_exception_fp_ieee_underflow 0
		.amdhsa_exception_fp_ieee_inexact 0
		.amdhsa_exception_int_div_zero 0
	.end_amdhsa_kernel
	.section	.text._Z11rank_kernelILj234ELj9ELj4ELb0EL18RadixRankAlgorithm2E6__halfEvPKT4_Pijj,"axG",@progbits,_Z11rank_kernelILj234ELj9ELj4ELb0EL18RadixRankAlgorithm2E6__halfEvPKT4_Pijj,comdat
.Lfunc_end57:
	.size	_Z11rank_kernelILj234ELj9ELj4ELb0EL18RadixRankAlgorithm2E6__halfEvPKT4_Pijj, .Lfunc_end57-_Z11rank_kernelILj234ELj9ELj4ELb0EL18RadixRankAlgorithm2E6__halfEvPKT4_Pijj
                                        ; -- End function
	.section	.AMDGPU.csdata,"",@progbits
; Kernel info:
; codeLenInByte = 3696
; NumSgprs: 18
; NumVgprs: 40
; NumAgprs: 0
; TotalNumVgprs: 40
; ScratchSize: 0
; MemoryBound: 0
; FloatMode: 240
; IeeeMode: 1
; LDSByteSize: 8432 bytes/workgroup (compile time only)
; SGPRBlocks: 2
; VGPRBlocks: 4
; NumSGPRsForWavesPerEU: 18
; NumVGPRsForWavesPerEU: 40
; AccumOffset: 40
; Occupancy: 7
; WaveLimiterHint : 0
; COMPUTE_PGM_RSRC2:SCRATCH_EN: 0
; COMPUTE_PGM_RSRC2:USER_SGPR: 6
; COMPUTE_PGM_RSRC2:TRAP_HANDLER: 0
; COMPUTE_PGM_RSRC2:TGID_X_EN: 1
; COMPUTE_PGM_RSRC2:TGID_Y_EN: 0
; COMPUTE_PGM_RSRC2:TGID_Z_EN: 0
; COMPUTE_PGM_RSRC2:TIDIG_COMP_CNT: 2
; COMPUTE_PGM_RSRC3_GFX90A:ACCUM_OFFSET: 9
; COMPUTE_PGM_RSRC3_GFX90A:TG_SPLIT: 0
	.section	.text._Z11rank_kernelILj100ELj3ELj4ELb0EL18RadixRankAlgorithm2EtEvPKT4_Pijj,"axG",@progbits,_Z11rank_kernelILj100ELj3ELj4ELb0EL18RadixRankAlgorithm2EtEvPKT4_Pijj,comdat
	.protected	_Z11rank_kernelILj100ELj3ELj4ELb0EL18RadixRankAlgorithm2EtEvPKT4_Pijj ; -- Begin function _Z11rank_kernelILj100ELj3ELj4ELb0EL18RadixRankAlgorithm2EtEvPKT4_Pijj
	.globl	_Z11rank_kernelILj100ELj3ELj4ELb0EL18RadixRankAlgorithm2EtEvPKT4_Pijj
	.p2align	8
	.type	_Z11rank_kernelILj100ELj3ELj4ELb0EL18RadixRankAlgorithm2EtEvPKT4_Pijj,@function
_Z11rank_kernelILj100ELj3ELj4ELb0EL18RadixRankAlgorithm2EtEvPKT4_Pijj: ; @_Z11rank_kernelILj100ELj3ELj4ELb0EL18RadixRankAlgorithm2EtEvPKT4_Pijj
; %bb.0:
	s_load_dwordx4 s[0:3], s[4:5], 0x0
	s_load_dwordx2 s[8:9], s[4:5], 0x10
	s_mulk_i32 s6, 0x12c
	s_mov_b32 s7, 0
	v_and_b32_e32 v2, 0x3ff, v0
	s_lshl_b64 s[10:11], s[6:7], 1
	s_waitcnt lgkmcnt(0)
	s_add_u32 s0, s0, s10
	v_mul_u32_u24_e32 v3, 3, v2
	s_addc_u32 s1, s1, s11
	v_lshlrev_b32_e32 v1, 1, v3
	global_load_dword v5, v1, s[0:1]
	global_load_ushort v13, v1, s[0:1] offset:4
	s_load_dword s1, s[4:5], 0x24
	v_mbcnt_lo_u32_b32 v1, -1, 0
	v_and_b32_e32 v12, 64, v2
	s_movk_i32 s0, 0xc0
	v_mbcnt_hi_u32_b32 v6, -1, v1
	v_lshrrev_b32_e32 v11, 6, v2
	v_cmp_ne_u32_e32 vcc, 0, v12
	v_bfe_u32 v1, v0, 10, 10
	v_bfe_u32 v0, v0, 20, 10
	v_mul_u32_u24_e32 v7, 0xc0, v11
	v_cndmask_b32_e64 v8, 64, 36, vcc
	v_mad_u32_u24 v9, v11, s0, v6
	s_waitcnt lgkmcnt(0)
	s_lshr_b32 s0, s1, 16
	v_mad_u32_u24 v7, v6, 3, v7
	v_lshlrev_b32_e32 v14, 1, v9
	v_lshlrev_b32_e32 v15, 1, v8
	s_and_b32 s1, s1, 0xffff
	s_and_b32 s9, s9, 31
	v_mad_u32_u24 v0, v0, s0, v1
	v_lshlrev_b32_e32 v16, 1, v7
	v_add_u32_e32 v18, v14, v15
	s_cmp_eq_u32 s9, 0
	v_mad_u64_u32 v[0:1], s[0:1], v0, s1, v[2:3]
	v_add_u32_e32 v19, v18, v15
	s_cselect_b64 s[4:5], -1, 0
	s_and_b32 s0, s8, 31
	v_lshrrev_b32_e32 v17, 6, v0
	s_add_i32 s0, s0, s9
	s_sub_i32 s8, 32, s9
	s_sub_i32 s9, 32, s0
	v_mov_b32_e32 v4, 0
	v_lshlrev_b32_e32 v10, 2, v2
	s_waitcnt vmcnt(1)
	ds_write_b16 v16, v5
	ds_write_b16_d16_hi v16, v5 offset:2
	s_waitcnt vmcnt(0)
	ds_write_b16 v16, v13 offset:4
	; wave barrier
	ds_read_u16 v0, v14
	ds_read_u16 v15, v18
	;; [unrolled: 1-line block ×3, first 2 shown]
	s_waitcnt lgkmcnt(0)
	s_barrier
	v_lshlrev_b32_e32 v0, s9, v0
	v_bfe_u32 v0, v0, s8, 16
	v_cndmask_b32_e64 v0, v0, 0, s[4:5]
	v_mul_u32_u24_e32 v1, 3, v0
	v_and_b32_e32 v14, 1, v0
	v_add_lshl_u32 v13, v17, v1, 2
	v_add_co_u32_e32 v1, vcc, -1, v14
	v_lshlrev_b32_e32 v5, 30, v0
	v_addc_co_u32_e64 v16, s[0:1], 0, -1, vcc
	v_cmp_ne_u32_e32 vcc, 0, v14
	v_cmp_gt_i64_e64 s[0:1], 0, v[4:5]
	v_not_b32_e32 v14, v5
	v_lshlrev_b32_e32 v5, 29, v0
	v_xor_b32_e32 v16, vcc_hi, v16
	v_xor_b32_e32 v1, vcc_lo, v1
	v_ashrrev_i32_e32 v14, 31, v14
	v_cmp_gt_i64_e32 vcc, 0, v[4:5]
	v_not_b32_e32 v19, v5
	v_lshlrev_b32_e32 v5, 28, v0
	v_and_b32_e32 v0, exec_hi, v16
	v_and_b32_e32 v1, exec_lo, v1
	v_xor_b32_e32 v16, s1, v14
	v_xor_b32_e32 v14, s0, v14
	v_ashrrev_i32_e32 v19, 31, v19
	v_cmp_gt_i64_e64 s[0:1], 0, v[4:5]
	v_not_b32_e32 v5, v5
	v_and_b32_e32 v0, v0, v16
	v_and_b32_e32 v1, v1, v14
	v_xor_b32_e32 v14, vcc_hi, v19
	v_xor_b32_e32 v16, vcc_lo, v19
	v_ashrrev_i32_e32 v5, 31, v5
	v_and_b32_e32 v0, v0, v14
	v_and_b32_e32 v14, v1, v16
	v_xor_b32_e32 v1, s1, v5
	v_xor_b32_e32 v5, s0, v5
	v_and_b32_e32 v1, v0, v1
	v_and_b32_e32 v0, v14, v5
	v_mbcnt_lo_u32_b32 v5, v0, 0
	v_mbcnt_hi_u32_b32 v14, v1, v5
	v_cmp_eq_u32_e32 vcc, 0, v14
	v_cmp_ne_u64_e64 s[0:1], 0, v[0:1]
	s_and_b64 s[10:11], s[0:1], vcc
	ds_write_b32 v10, v4 offset:8
	s_waitcnt lgkmcnt(0)
	s_barrier
	s_waitcnt lgkmcnt(0)
	; wave barrier
	s_and_saveexec_b64 s[0:1], s[10:11]
	s_cbranch_execz .LBB58_2
; %bb.1:
	v_bcnt_u32_b32 v0, v0, 0
	v_bcnt_u32_b32 v0, v1, v0
	ds_write_b32 v13, v0 offset:8
.LBB58_2:
	s_or_b64 exec, exec, s[0:1]
	v_lshlrev_b32_sdwa v0, s9, v15 dst_sel:DWORD dst_unused:UNUSED_PAD src0_sel:DWORD src1_sel:WORD_0
	v_bfe_u32 v0, v0, s8, 16
	v_cndmask_b32_e64 v0, v0, 0, s[4:5]
	v_mul_u32_u24_e32 v1, 3, v0
	v_add_lshl_u32 v16, v17, v1, 2
	v_and_b32_e32 v1, 1, v0
	v_add_co_u32_e32 v5, vcc, -1, v1
	v_addc_co_u32_e64 v19, s[0:1], 0, -1, vcc
	v_cmp_ne_u32_e32 vcc, 0, v1
	v_xor_b32_e32 v5, vcc_lo, v5
	v_xor_b32_e32 v1, vcc_hi, v19
	v_and_b32_e32 v19, exec_lo, v5
	v_lshlrev_b32_e32 v5, 30, v0
	v_cmp_gt_i64_e32 vcc, 0, v[4:5]
	v_not_b32_e32 v5, v5
	v_ashrrev_i32_e32 v5, 31, v5
	v_xor_b32_e32 v20, vcc_hi, v5
	v_xor_b32_e32 v5, vcc_lo, v5
	v_and_b32_e32 v19, v19, v5
	v_lshlrev_b32_e32 v5, 29, v0
	v_cmp_gt_i64_e32 vcc, 0, v[4:5]
	v_not_b32_e32 v5, v5
	v_and_b32_e32 v1, exec_hi, v1
	v_ashrrev_i32_e32 v5, 31, v5
	v_and_b32_e32 v1, v1, v20
	v_xor_b32_e32 v20, vcc_hi, v5
	v_xor_b32_e32 v5, vcc_lo, v5
	v_and_b32_e32 v19, v19, v5
	v_lshlrev_b32_e32 v5, 28, v0
	v_not_b32_e32 v0, v5
	v_cmp_gt_i64_e32 vcc, 0, v[4:5]
	v_ashrrev_i32_e32 v0, 31, v0
	v_xor_b32_e32 v4, vcc_hi, v0
	v_xor_b32_e32 v0, vcc_lo, v0
	; wave barrier
	ds_read_b32 v15, v16 offset:8
	v_and_b32_e32 v1, v1, v20
	v_and_b32_e32 v0, v19, v0
	;; [unrolled: 1-line block ×3, first 2 shown]
	v_mbcnt_lo_u32_b32 v4, v0, 0
	v_mbcnt_hi_u32_b32 v4, v1, v4
	v_cmp_eq_u32_e32 vcc, 0, v4
	v_cmp_ne_u64_e64 s[0:1], 0, v[0:1]
	s_and_b64 s[10:11], s[0:1], vcc
	; wave barrier
	s_and_saveexec_b64 s[0:1], s[10:11]
	s_cbranch_execz .LBB58_4
; %bb.3:
	v_bcnt_u32_b32 v0, v0, 0
	v_bcnt_u32_b32 v0, v1, v0
	s_waitcnt lgkmcnt(0)
	v_add_u32_e32 v0, v15, v0
	ds_write_b32 v16, v0 offset:8
.LBB58_4:
	s_or_b64 exec, exec, s[0:1]
	v_lshlrev_b32_sdwa v0, s9, v18 dst_sel:DWORD dst_unused:UNUSED_PAD src0_sel:DWORD src1_sel:WORD_0
	v_bfe_u32 v1, v0, s8, 16
	v_cndmask_b32_e64 v18, v1, 0, s[4:5]
	v_mul_u32_u24_e32 v1, 3, v18
	v_add_lshl_u32 v17, v17, v1, 2
	v_and_b32_e32 v1, 1, v18
	v_add_co_u32_e32 v19, vcc, -1, v1
	v_addc_co_u32_e64 v20, s[0:1], 0, -1, vcc
	v_cmp_ne_u32_e32 vcc, 0, v1
	v_xor_b32_e32 v1, vcc_hi, v20
	v_mov_b32_e32 v0, 0
	v_and_b32_e32 v20, exec_hi, v1
	v_lshlrev_b32_e32 v1, 30, v18
	v_xor_b32_e32 v19, vcc_lo, v19
	v_cmp_gt_i64_e32 vcc, 0, v[0:1]
	v_not_b32_e32 v1, v1
	v_ashrrev_i32_e32 v1, 31, v1
	v_and_b32_e32 v19, exec_lo, v19
	v_xor_b32_e32 v21, vcc_hi, v1
	v_xor_b32_e32 v1, vcc_lo, v1
	v_and_b32_e32 v19, v19, v1
	v_lshlrev_b32_e32 v1, 29, v18
	v_cmp_gt_i64_e32 vcc, 0, v[0:1]
	v_not_b32_e32 v1, v1
	v_ashrrev_i32_e32 v1, 31, v1
	v_and_b32_e32 v20, v20, v21
	v_xor_b32_e32 v21, vcc_hi, v1
	v_xor_b32_e32 v1, vcc_lo, v1
	v_and_b32_e32 v19, v19, v1
	v_lshlrev_b32_e32 v1, 28, v18
	v_cmp_gt_i64_e32 vcc, 0, v[0:1]
	v_not_b32_e32 v0, v1
	v_ashrrev_i32_e32 v0, 31, v0
	v_xor_b32_e32 v1, vcc_hi, v0
	v_xor_b32_e32 v0, vcc_lo, v0
	; wave barrier
	ds_read_b32 v5, v17 offset:8
	v_and_b32_e32 v20, v20, v21
	v_and_b32_e32 v0, v19, v0
	;; [unrolled: 1-line block ×3, first 2 shown]
	v_mbcnt_lo_u32_b32 v18, v0, 0
	v_mbcnt_hi_u32_b32 v18, v1, v18
	v_cmp_eq_u32_e32 vcc, 0, v18
	v_cmp_ne_u64_e64 s[0:1], 0, v[0:1]
	s_and_b64 s[4:5], s[0:1], vcc
	; wave barrier
	s_and_saveexec_b64 s[0:1], s[4:5]
	s_cbranch_execz .LBB58_6
; %bb.5:
	v_bcnt_u32_b32 v0, v0, 0
	v_bcnt_u32_b32 v0, v1, v0
	s_waitcnt lgkmcnt(0)
	v_add_u32_e32 v0, v5, v0
	ds_write_b32 v17, v0 offset:8
.LBB58_6:
	s_or_b64 exec, exec, s[0:1]
	; wave barrier
	s_waitcnt lgkmcnt(0)
	s_barrier
	ds_read_b32 v0, v10 offset:8
	v_and_b32_e32 v1, 15, v6
	v_cmp_ne_u32_e32 vcc, 0, v1
	s_waitcnt lgkmcnt(0)
	v_mov_b32_dpp v19, v0 row_shr:1 row_mask:0xf bank_mask:0xf
	v_cndmask_b32_e32 v19, 0, v19, vcc
	v_add_u32_e32 v0, v19, v0
	v_cmp_lt_u32_e32 vcc, 1, v1
	s_nop 0
	v_mov_b32_dpp v19, v0 row_shr:2 row_mask:0xf bank_mask:0xf
	v_cndmask_b32_e32 v19, 0, v19, vcc
	v_add_u32_e32 v0, v0, v19
	v_cmp_lt_u32_e32 vcc, 3, v1
	s_nop 0
	;; [unrolled: 5-line block ×3, first 2 shown]
	v_mov_b32_dpp v19, v0 row_shr:8 row_mask:0xf bank_mask:0xf
	v_cndmask_b32_e32 v1, 0, v19, vcc
	v_add_u32_e32 v0, v0, v1
	v_bfe_i32 v19, v6, 4, 1
	v_cmp_lt_u32_e32 vcc, 31, v6
	v_mov_b32_dpp v1, v0 row_bcast:15 row_mask:0xf bank_mask:0xf
	v_and_b32_e32 v1, v19, v1
	v_add_u32_e32 v0, v0, v1
	s_nop 1
	v_mov_b32_dpp v1, v0 row_bcast:31 row_mask:0xf bank_mask:0xf
	v_cndmask_b32_e32 v1, 0, v1, vcc
	v_add_u32_e32 v0, v0, v1
	v_min_u32_e32 v1, 36, v12
	v_add_u32_e32 v1, 63, v1
	v_cmp_eq_u32_e32 vcc, v1, v2
	s_and_saveexec_b64 s[0:1], vcc
	s_xor_b64 s[0:1], exec, s[0:1]
	s_cbranch_execz .LBB58_8
; %bb.7:
	v_lshlrev_b32_e32 v1, 2, v11
	ds_write_b32 v1, v0
.LBB58_8:
	s_or_b64 exec, exec, s[0:1]
	v_cmp_gt_u32_e32 vcc, 2, v2
	s_waitcnt lgkmcnt(0)
	s_barrier
	s_and_saveexec_b64 s[0:1], vcc
	s_cbranch_execz .LBB58_10
; %bb.9:
	ds_read_b32 v1, v10
	v_bfe_i32 v12, v6, 0, 1
	s_waitcnt lgkmcnt(0)
	v_mov_b32_dpp v19, v1 row_shr:1 row_mask:0xf bank_mask:0xf
	v_and_b32_e32 v12, v12, v19
	v_add_u32_e32 v1, v12, v1
	ds_write_b32 v10, v1
.LBB58_10:
	s_or_b64 exec, exec, s[0:1]
	v_cmp_lt_u32_e32 vcc, 63, v2
	v_mov_b32_e32 v1, 0
	s_waitcnt lgkmcnt(0)
	s_barrier
	s_and_saveexec_b64 s[0:1], vcc
	s_cbranch_execz .LBB58_12
; %bb.11:
	v_lshl_add_u32 v1, v11, 2, -4
	ds_read_b32 v1, v1
.LBB58_12:
	s_or_b64 exec, exec, s[0:1]
	v_add_u32_e32 v2, -1, v6
	v_and_b32_e32 v11, 64, v6
	v_cmp_lt_i32_e32 vcc, v2, v11
	v_cndmask_b32_e32 v2, v2, v6, vcc
	s_waitcnt lgkmcnt(0)
	v_add_u32_e32 v0, v1, v0
	v_lshlrev_b32_e32 v2, 2, v2
	ds_bpermute_b32 v0, v2, v0
	v_cmp_eq_u32_e32 vcc, 0, v6
	s_lshl_b64 s[0:1], s[6:7], 2
	s_add_u32 s0, s2, s0
	s_addc_u32 s1, s3, s1
	s_waitcnt lgkmcnt(0)
	v_cndmask_b32_e32 v0, v0, v1, vcc
	ds_write_b32 v10, v0 offset:8
	s_waitcnt lgkmcnt(0)
	s_barrier
	ds_read_b32 v0, v13 offset:8
	ds_read_b32 v1, v16 offset:8
	;; [unrolled: 1-line block ×3, first 2 shown]
	s_waitcnt lgkmcnt(0)
	s_barrier
	v_add_u32_e32 v0, v0, v14
	v_add3_u32 v1, v4, v15, v1
	v_lshlrev_b32_e32 v4, 2, v9
	ds_write_b32 v4, v0
	v_lshlrev_b32_e32 v0, 2, v8
	v_add_u32_e32 v4, v4, v0
	v_add3_u32 v2, v18, v5, v2
	v_add_u32_e32 v0, v4, v0
	ds_write_b32 v0, v2
	v_lshlrev_b32_e32 v2, 2, v7
	ds_write_b32 v4, v1
	; wave barrier
	ds_read2_b32 v[0:1], v2 offset1:1
	ds_read_b32 v2, v2 offset:8
	v_lshlrev_b32_e32 v3, 2, v3
	s_waitcnt lgkmcnt(0)
	global_store_dwordx3 v3, v[0:2], s[0:1]
	s_endpgm
	.section	.rodata,"a",@progbits
	.p2align	6, 0x0
	.amdhsa_kernel _Z11rank_kernelILj100ELj3ELj4ELb0EL18RadixRankAlgorithm2EtEvPKT4_Pijj
		.amdhsa_group_segment_fixed_size 1200
		.amdhsa_private_segment_fixed_size 0
		.amdhsa_kernarg_size 280
		.amdhsa_user_sgpr_count 6
		.amdhsa_user_sgpr_private_segment_buffer 1
		.amdhsa_user_sgpr_dispatch_ptr 0
		.amdhsa_user_sgpr_queue_ptr 0
		.amdhsa_user_sgpr_kernarg_segment_ptr 1
		.amdhsa_user_sgpr_dispatch_id 0
		.amdhsa_user_sgpr_flat_scratch_init 0
		.amdhsa_user_sgpr_kernarg_preload_length 0
		.amdhsa_user_sgpr_kernarg_preload_offset 0
		.amdhsa_user_sgpr_private_segment_size 0
		.amdhsa_uses_dynamic_stack 0
		.amdhsa_system_sgpr_private_segment_wavefront_offset 0
		.amdhsa_system_sgpr_workgroup_id_x 1
		.amdhsa_system_sgpr_workgroup_id_y 0
		.amdhsa_system_sgpr_workgroup_id_z 0
		.amdhsa_system_sgpr_workgroup_info 0
		.amdhsa_system_vgpr_workitem_id 2
		.amdhsa_next_free_vgpr 22
		.amdhsa_next_free_sgpr 12
		.amdhsa_accum_offset 24
		.amdhsa_reserve_vcc 1
		.amdhsa_reserve_flat_scratch 0
		.amdhsa_float_round_mode_32 0
		.amdhsa_float_round_mode_16_64 0
		.amdhsa_float_denorm_mode_32 3
		.amdhsa_float_denorm_mode_16_64 3
		.amdhsa_dx10_clamp 1
		.amdhsa_ieee_mode 1
		.amdhsa_fp16_overflow 0
		.amdhsa_tg_split 0
		.amdhsa_exception_fp_ieee_invalid_op 0
		.amdhsa_exception_fp_denorm_src 0
		.amdhsa_exception_fp_ieee_div_zero 0
		.amdhsa_exception_fp_ieee_overflow 0
		.amdhsa_exception_fp_ieee_underflow 0
		.amdhsa_exception_fp_ieee_inexact 0
		.amdhsa_exception_int_div_zero 0
	.end_amdhsa_kernel
	.section	.text._Z11rank_kernelILj100ELj3ELj4ELb0EL18RadixRankAlgorithm2EtEvPKT4_Pijj,"axG",@progbits,_Z11rank_kernelILj100ELj3ELj4ELb0EL18RadixRankAlgorithm2EtEvPKT4_Pijj,comdat
.Lfunc_end58:
	.size	_Z11rank_kernelILj100ELj3ELj4ELb0EL18RadixRankAlgorithm2EtEvPKT4_Pijj, .Lfunc_end58-_Z11rank_kernelILj100ELj3ELj4ELb0EL18RadixRankAlgorithm2EtEvPKT4_Pijj
                                        ; -- End function
	.section	.AMDGPU.csdata,"",@progbits
; Kernel info:
; codeLenInByte = 1608
; NumSgprs: 16
; NumVgprs: 22
; NumAgprs: 0
; TotalNumVgprs: 22
; ScratchSize: 0
; MemoryBound: 0
; FloatMode: 240
; IeeeMode: 1
; LDSByteSize: 1200 bytes/workgroup (compile time only)
; SGPRBlocks: 1
; VGPRBlocks: 2
; NumSGPRsForWavesPerEU: 16
; NumVGPRsForWavesPerEU: 22
; AccumOffset: 24
; Occupancy: 8
; WaveLimiterHint : 0
; COMPUTE_PGM_RSRC2:SCRATCH_EN: 0
; COMPUTE_PGM_RSRC2:USER_SGPR: 6
; COMPUTE_PGM_RSRC2:TRAP_HANDLER: 0
; COMPUTE_PGM_RSRC2:TGID_X_EN: 1
; COMPUTE_PGM_RSRC2:TGID_Y_EN: 0
; COMPUTE_PGM_RSRC2:TGID_Z_EN: 0
; COMPUTE_PGM_RSRC2:TIDIG_COMP_CNT: 2
; COMPUTE_PGM_RSRC3_GFX90A:ACCUM_OFFSET: 5
; COMPUTE_PGM_RSRC3_GFX90A:TG_SPLIT: 0
	.section	.text._Z11rank_kernelILj464ELj2ELj4ELb1EL18RadixRankAlgorithm2EcEvPKT4_Pijj,"axG",@progbits,_Z11rank_kernelILj464ELj2ELj4ELb1EL18RadixRankAlgorithm2EcEvPKT4_Pijj,comdat
	.protected	_Z11rank_kernelILj464ELj2ELj4ELb1EL18RadixRankAlgorithm2EcEvPKT4_Pijj ; -- Begin function _Z11rank_kernelILj464ELj2ELj4ELb1EL18RadixRankAlgorithm2EcEvPKT4_Pijj
	.globl	_Z11rank_kernelILj464ELj2ELj4ELb1EL18RadixRankAlgorithm2EcEvPKT4_Pijj
	.p2align	8
	.type	_Z11rank_kernelILj464ELj2ELj4ELb1EL18RadixRankAlgorithm2EcEvPKT4_Pijj,@function
_Z11rank_kernelILj464ELj2ELj4ELb1EL18RadixRankAlgorithm2EcEvPKT4_Pijj: ; @_Z11rank_kernelILj464ELj2ELj4ELb1EL18RadixRankAlgorithm2EcEvPKT4_Pijj
; %bb.0:
	s_load_dwordx4 s[0:3], s[4:5], 0x0
	s_load_dwordx2 s[8:9], s[4:5], 0x10
	s_mulk_i32 s6, 0x3a0
	v_and_b32_e32 v2, 0x3ff, v0
	v_lshlrev_b32_e32 v3, 1, v2
	s_waitcnt lgkmcnt(0)
	s_add_u32 s0, s0, s6
	s_addc_u32 s1, s1, 0
	global_load_ushort v5, v3, s[0:1]
	s_load_dword s4, s[4:5], 0x24
	v_mbcnt_lo_u32_b32 v1, -1, 0
	s_movk_i32 s0, 0x1c0
	v_and_b32_e32 v14, 0x1c0, v2
	s_movk_i32 s1, 0x380
	v_mbcnt_hi_u32_b32 v6, -1, v1
	v_cmp_eq_u32_e32 vcc, s0, v14
	v_and_or_b32 v9, v3, s1, v6
	v_cndmask_b32_e64 v10, 64, 16, vcc
	v_bfe_u32 v1, v0, 10, 10
	v_bfe_u32 v0, v0, 20, 10
	v_add_u32_e32 v8, v6, v14
	v_add_u32_e32 v10, v9, v10
	s_waitcnt lgkmcnt(0)
	s_lshr_b32 s0, s4, 16
	v_lshlrev_b32_e32 v7, 1, v8
	v_bfe_u32 v8, v8, 4, 27
	v_lshrrev_b32_e32 v11, 5, v9
	v_lshrrev_b32_e32 v12, 5, v10
	s_and_b32 s1, s4, 0xffff
	v_mad_u32_u24 v0, v0, s0, v1
	v_and_b32_e32 v15, 60, v8
	v_and_b32_e32 v16, 28, v11
	;; [unrolled: 1-line block ×3, first 2 shown]
	v_mad_u64_u32 v[0:1], s[0:1], v0, s1, v[2:3]
	v_add_u32_e32 v15, v15, v7
	v_add_u32_e32 v16, v16, v9
	;; [unrolled: 1-line block ×3, first 2 shown]
	v_lshrrev_b32_e32 v17, 6, v0
	s_and_b32 s9, s9, 31
	s_cmp_eq_u32 s9, 0
	s_cselect_b64 s[4:5], -1, 0
	s_and_b32 s0, s8, 31
	s_add_i32 s0, s0, s9
	s_sub_i32 s8, 32, s9
	s_sub_i32 s9, 32, s0
	v_mov_b32_e32 v4, 0
	s_mov_b32 s7, 0
	v_lshlrev_b32_e32 v13, 2, v2
	s_waitcnt vmcnt(0)
	v_lshrrev_b16_e32 v0, 8, v5
	ds_write_b8 v15, v5
	ds_write_b8 v15, v0 offset:1
	; wave barrier
	ds_read_u8 v0, v16
	ds_read_u8 v18, v18
	s_waitcnt lgkmcnt(0)
	s_barrier
	v_xor_b32_e32 v0, 0x80, v0
	v_lshlrev_b32_e32 v0, s9, v0
	v_bfe_u32 v0, v0, s8, 8
	v_xor_b32_e32 v0, 15, v0
	v_cndmask_b32_e64 v0, v0, 15, s[4:5]
	v_mul_u32_u24_e32 v1, 9, v0
	v_and_b32_e32 v16, 1, v0
	v_add_lshl_u32 v15, v17, v1, 2
	v_add_co_u32_e32 v1, vcc, -1, v16
	v_lshlrev_b32_e32 v5, 30, v0
	v_addc_co_u32_e64 v19, s[0:1], 0, -1, vcc
	v_cmp_ne_u32_e32 vcc, 0, v16
	v_cmp_gt_i64_e64 s[0:1], 0, v[4:5]
	v_not_b32_e32 v16, v5
	v_lshlrev_b32_e32 v5, 29, v0
	v_xor_b32_e32 v19, vcc_hi, v19
	v_xor_b32_e32 v1, vcc_lo, v1
	v_ashrrev_i32_e32 v16, 31, v16
	v_cmp_gt_i64_e32 vcc, 0, v[4:5]
	v_not_b32_e32 v20, v5
	v_lshlrev_b32_e32 v5, 28, v0
	v_and_b32_e32 v0, exec_hi, v19
	v_and_b32_e32 v1, exec_lo, v1
	v_xor_b32_e32 v19, s1, v16
	v_xor_b32_e32 v16, s0, v16
	v_ashrrev_i32_e32 v20, 31, v20
	v_cmp_gt_i64_e64 s[0:1], 0, v[4:5]
	v_not_b32_e32 v5, v5
	v_and_b32_e32 v0, v0, v19
	v_and_b32_e32 v1, v1, v16
	v_xor_b32_e32 v16, vcc_hi, v20
	v_xor_b32_e32 v19, vcc_lo, v20
	v_ashrrev_i32_e32 v5, 31, v5
	v_and_b32_e32 v0, v0, v16
	v_and_b32_e32 v16, v1, v19
	v_xor_b32_e32 v1, s1, v5
	v_xor_b32_e32 v5, s0, v5
	v_and_b32_e32 v1, v0, v1
	v_and_b32_e32 v0, v16, v5
	v_mbcnt_lo_u32_b32 v5, v0, 0
	v_mbcnt_hi_u32_b32 v16, v1, v5
	v_cmp_eq_u32_e32 vcc, 0, v16
	v_cmp_ne_u64_e64 s[0:1], 0, v[0:1]
	s_and_b64 s[10:11], s[0:1], vcc
	ds_write_b32 v13, v4 offset:32
	s_waitcnt lgkmcnt(0)
	s_barrier
	s_waitcnt lgkmcnt(0)
	; wave barrier
	s_and_saveexec_b64 s[0:1], s[10:11]
	s_cbranch_execz .LBB59_2
; %bb.1:
	v_bcnt_u32_b32 v0, v0, 0
	v_bcnt_u32_b32 v0, v1, v0
	ds_write_b32 v15, v0 offset:32
.LBB59_2:
	s_or_b64 exec, exec, s[0:1]
	v_xor_b32_e32 v0, 0x80, v18
	v_lshlrev_b32_sdwa v0, s9, v0 dst_sel:DWORD dst_unused:UNUSED_PAD src0_sel:DWORD src1_sel:BYTE_0
	v_bfe_u32 v0, v0, s8, 8
	v_xor_b32_e32 v0, 15, v0
	v_cndmask_b32_e64 v0, v0, 15, s[4:5]
	v_mul_u32_u24_e32 v1, 9, v0
	v_add_lshl_u32 v18, v17, v1, 2
	v_and_b32_e32 v1, 1, v0
	v_add_co_u32_e32 v5, vcc, -1, v1
	v_addc_co_u32_e64 v19, s[0:1], 0, -1, vcc
	v_cmp_ne_u32_e32 vcc, 0, v1
	v_xor_b32_e32 v5, vcc_lo, v5
	v_xor_b32_e32 v1, vcc_hi, v19
	v_and_b32_e32 v19, exec_lo, v5
	v_lshlrev_b32_e32 v5, 30, v0
	v_cmp_gt_i64_e32 vcc, 0, v[4:5]
	v_not_b32_e32 v5, v5
	v_ashrrev_i32_e32 v5, 31, v5
	v_xor_b32_e32 v20, vcc_hi, v5
	v_xor_b32_e32 v5, vcc_lo, v5
	v_and_b32_e32 v19, v19, v5
	v_lshlrev_b32_e32 v5, 29, v0
	v_cmp_gt_i64_e32 vcc, 0, v[4:5]
	v_not_b32_e32 v5, v5
	v_and_b32_e32 v1, exec_hi, v1
	v_ashrrev_i32_e32 v5, 31, v5
	v_and_b32_e32 v1, v1, v20
	v_xor_b32_e32 v20, vcc_hi, v5
	v_xor_b32_e32 v5, vcc_lo, v5
	v_and_b32_e32 v19, v19, v5
	v_lshlrev_b32_e32 v5, 28, v0
	v_not_b32_e32 v0, v5
	v_cmp_gt_i64_e32 vcc, 0, v[4:5]
	v_ashrrev_i32_e32 v0, 31, v0
	v_xor_b32_e32 v4, vcc_hi, v0
	v_xor_b32_e32 v0, vcc_lo, v0
	; wave barrier
	ds_read_b32 v17, v18 offset:32
	v_and_b32_e32 v1, v1, v20
	v_and_b32_e32 v0, v19, v0
	;; [unrolled: 1-line block ×3, first 2 shown]
	v_mbcnt_lo_u32_b32 v4, v0, 0
	v_mbcnt_hi_u32_b32 v4, v1, v4
	v_cmp_eq_u32_e32 vcc, 0, v4
	v_cmp_ne_u64_e64 s[0:1], 0, v[0:1]
	s_and_b64 s[4:5], s[0:1], vcc
	; wave barrier
	s_and_saveexec_b64 s[0:1], s[4:5]
	s_cbranch_execz .LBB59_4
; %bb.3:
	v_bcnt_u32_b32 v0, v0, 0
	v_bcnt_u32_b32 v0, v1, v0
	s_waitcnt lgkmcnt(0)
	v_add_u32_e32 v0, v17, v0
	ds_write_b32 v18, v0 offset:32
.LBB59_4:
	s_or_b64 exec, exec, s[0:1]
	; wave barrier
	s_waitcnt lgkmcnt(0)
	s_barrier
	ds_read_b32 v0, v13 offset:32
	v_and_b32_e32 v1, 15, v6
	v_cmp_ne_u32_e32 vcc, 0, v1
	s_waitcnt lgkmcnt(0)
	v_mov_b32_dpp v5, v0 row_shr:1 row_mask:0xf bank_mask:0xf
	v_cndmask_b32_e32 v5, 0, v5, vcc
	v_add_u32_e32 v0, v5, v0
	v_cmp_lt_u32_e32 vcc, 1, v1
	s_nop 0
	v_mov_b32_dpp v5, v0 row_shr:2 row_mask:0xf bank_mask:0xf
	v_cndmask_b32_e32 v5, 0, v5, vcc
	v_add_u32_e32 v0, v0, v5
	v_cmp_lt_u32_e32 vcc, 3, v1
	s_nop 0
	;; [unrolled: 5-line block ×3, first 2 shown]
	v_mov_b32_dpp v5, v0 row_shr:8 row_mask:0xf bank_mask:0xf
	v_cndmask_b32_e32 v1, 0, v5, vcc
	v_add_u32_e32 v0, v0, v1
	v_bfe_i32 v5, v6, 4, 1
	v_cmp_lt_u32_e32 vcc, 31, v6
	v_mov_b32_dpp v1, v0 row_bcast:15 row_mask:0xf bank_mask:0xf
	v_and_b32_e32 v1, v5, v1
	v_add_u32_e32 v0, v0, v1
	v_min_u32_e32 v5, 0x190, v14
	v_add_u32_e32 v5, 63, v5
	v_mov_b32_dpp v1, v0 row_bcast:31 row_mask:0xf bank_mask:0xf
	v_cndmask_b32_e32 v1, 0, v1, vcc
	v_add_u32_e32 v0, v0, v1
	v_lshrrev_b32_e32 v1, 6, v2
	v_cmp_eq_u32_e32 vcc, v5, v2
	s_and_saveexec_b64 s[0:1], vcc
	s_xor_b64 s[0:1], exec, s[0:1]
	s_cbranch_execz .LBB59_6
; %bb.5:
	v_lshlrev_b32_e32 v5, 2, v1
	ds_write_b32 v5, v0
.LBB59_6:
	s_or_b64 exec, exec, s[0:1]
	v_cmp_gt_u32_e32 vcc, 8, v2
	s_waitcnt lgkmcnt(0)
	s_barrier
	s_and_saveexec_b64 s[0:1], vcc
	s_cbranch_execz .LBB59_8
; %bb.7:
	ds_read_b32 v5, v13
	v_and_b32_e32 v14, 7, v6
	v_cmp_ne_u32_e32 vcc, 0, v14
	s_waitcnt lgkmcnt(0)
	v_mov_b32_dpp v19, v5 row_shr:1 row_mask:0xf bank_mask:0xf
	v_cndmask_b32_e32 v19, 0, v19, vcc
	v_add_u32_e32 v5, v19, v5
	v_cmp_lt_u32_e32 vcc, 1, v14
	s_nop 0
	v_mov_b32_dpp v19, v5 row_shr:2 row_mask:0xf bank_mask:0xf
	v_cndmask_b32_e32 v19, 0, v19, vcc
	v_add_u32_e32 v5, v5, v19
	v_cmp_lt_u32_e32 vcc, 3, v14
	s_nop 0
	v_mov_b32_dpp v19, v5 row_shr:4 row_mask:0xf bank_mask:0xf
	v_cndmask_b32_e32 v14, 0, v19, vcc
	v_add_u32_e32 v5, v5, v14
	ds_write_b32 v13, v5
.LBB59_8:
	s_or_b64 exec, exec, s[0:1]
	v_cmp_lt_u32_e32 vcc, 63, v2
	v_mov_b32_e32 v2, 0
	s_waitcnt lgkmcnt(0)
	s_barrier
	s_and_saveexec_b64 s[0:1], vcc
	s_cbranch_execz .LBB59_10
; %bb.9:
	v_lshl_add_u32 v1, v1, 2, -4
	ds_read_b32 v2, v1
.LBB59_10:
	s_or_b64 exec, exec, s[0:1]
	v_add_u32_e32 v1, -1, v6
	v_and_b32_e32 v5, 64, v6
	v_cmp_lt_i32_e32 vcc, v1, v5
	v_cndmask_b32_e32 v1, v1, v6, vcc
	s_waitcnt lgkmcnt(0)
	v_add_u32_e32 v0, v2, v0
	v_lshlrev_b32_e32 v1, 2, v1
	ds_bpermute_b32 v0, v1, v0
	v_cmp_eq_u32_e32 vcc, 0, v6
	s_lshl_b64 s[0:1], s[6:7], 2
	s_add_u32 s0, s2, s0
	s_addc_u32 s1, s3, s1
	s_waitcnt lgkmcnt(0)
	v_cndmask_b32_e32 v0, v0, v2, vcc
	ds_write_b32 v13, v0 offset:32
	s_waitcnt lgkmcnt(0)
	s_barrier
	ds_read_b32 v0, v15 offset:32
	ds_read_b32 v1, v18 offset:32
	v_add_lshl_u32 v2, v11, v9, 2
	s_waitcnt lgkmcnt(0)
	s_barrier
	v_add_u32_e32 v0, v0, v16
	v_add3_u32 v1, v4, v17, v1
	ds_write_b32 v2, v0
	v_add_lshl_u32 v0, v12, v10, 2
	ds_write_b32 v0, v1
	v_add_lshl_u32 v0, v8, v7, 2
	; wave barrier
	ds_read2_b32 v[0:1], v0 offset1:1
	v_lshlrev_b32_e32 v2, 2, v3
	s_waitcnt lgkmcnt(0)
	global_store_dwordx2 v2, v[0:1], s[0:1]
	s_endpgm
	.section	.rodata,"a",@progbits
	.p2align	6, 0x0
	.amdhsa_kernel _Z11rank_kernelILj464ELj2ELj4ELb1EL18RadixRankAlgorithm2EcEvPKT4_Pijj
		.amdhsa_group_segment_fixed_size 3840
		.amdhsa_private_segment_fixed_size 0
		.amdhsa_kernarg_size 280
		.amdhsa_user_sgpr_count 6
		.amdhsa_user_sgpr_private_segment_buffer 1
		.amdhsa_user_sgpr_dispatch_ptr 0
		.amdhsa_user_sgpr_queue_ptr 0
		.amdhsa_user_sgpr_kernarg_segment_ptr 1
		.amdhsa_user_sgpr_dispatch_id 0
		.amdhsa_user_sgpr_flat_scratch_init 0
		.amdhsa_user_sgpr_kernarg_preload_length 0
		.amdhsa_user_sgpr_kernarg_preload_offset 0
		.amdhsa_user_sgpr_private_segment_size 0
		.amdhsa_uses_dynamic_stack 0
		.amdhsa_system_sgpr_private_segment_wavefront_offset 0
		.amdhsa_system_sgpr_workgroup_id_x 1
		.amdhsa_system_sgpr_workgroup_id_y 0
		.amdhsa_system_sgpr_workgroup_id_z 0
		.amdhsa_system_sgpr_workgroup_info 0
		.amdhsa_system_vgpr_workitem_id 2
		.amdhsa_next_free_vgpr 21
		.amdhsa_next_free_sgpr 12
		.amdhsa_accum_offset 24
		.amdhsa_reserve_vcc 1
		.amdhsa_reserve_flat_scratch 0
		.amdhsa_float_round_mode_32 0
		.amdhsa_float_round_mode_16_64 0
		.amdhsa_float_denorm_mode_32 3
		.amdhsa_float_denorm_mode_16_64 3
		.amdhsa_dx10_clamp 1
		.amdhsa_ieee_mode 1
		.amdhsa_fp16_overflow 0
		.amdhsa_tg_split 0
		.amdhsa_exception_fp_ieee_invalid_op 0
		.amdhsa_exception_fp_denorm_src 0
		.amdhsa_exception_fp_ieee_div_zero 0
		.amdhsa_exception_fp_ieee_overflow 0
		.amdhsa_exception_fp_ieee_underflow 0
		.amdhsa_exception_fp_ieee_inexact 0
		.amdhsa_exception_int_div_zero 0
	.end_amdhsa_kernel
	.section	.text._Z11rank_kernelILj464ELj2ELj4ELb1EL18RadixRankAlgorithm2EcEvPKT4_Pijj,"axG",@progbits,_Z11rank_kernelILj464ELj2ELj4ELb1EL18RadixRankAlgorithm2EcEvPKT4_Pijj,comdat
.Lfunc_end59:
	.size	_Z11rank_kernelILj464ELj2ELj4ELb1EL18RadixRankAlgorithm2EcEvPKT4_Pijj, .Lfunc_end59-_Z11rank_kernelILj464ELj2ELj4ELb1EL18RadixRankAlgorithm2EcEvPKT4_Pijj
                                        ; -- End function
	.section	.AMDGPU.csdata,"",@progbits
; Kernel info:
; codeLenInByte = 1388
; NumSgprs: 16
; NumVgprs: 21
; NumAgprs: 0
; TotalNumVgprs: 21
; ScratchSize: 0
; MemoryBound: 0
; FloatMode: 240
; IeeeMode: 1
; LDSByteSize: 3840 bytes/workgroup (compile time only)
; SGPRBlocks: 1
; VGPRBlocks: 2
; NumSGPRsForWavesPerEU: 16
; NumVGPRsForWavesPerEU: 21
; AccumOffset: 24
; Occupancy: 8
; WaveLimiterHint : 0
; COMPUTE_PGM_RSRC2:SCRATCH_EN: 0
; COMPUTE_PGM_RSRC2:USER_SGPR: 6
; COMPUTE_PGM_RSRC2:TRAP_HANDLER: 0
; COMPUTE_PGM_RSRC2:TGID_X_EN: 1
; COMPUTE_PGM_RSRC2:TGID_Y_EN: 0
; COMPUTE_PGM_RSRC2:TGID_Z_EN: 0
; COMPUTE_PGM_RSRC2:TIDIG_COMP_CNT: 2
; COMPUTE_PGM_RSRC3_GFX90A:ACCUM_OFFSET: 5
; COMPUTE_PGM_RSRC3_GFX90A:TG_SPLIT: 0
	.section	.text._Z11rank_kernelILj33ELj5ELj4ELb0EL18RadixRankAlgorithm2EdEvPKT4_Pijj,"axG",@progbits,_Z11rank_kernelILj33ELj5ELj4ELb0EL18RadixRankAlgorithm2EdEvPKT4_Pijj,comdat
	.protected	_Z11rank_kernelILj33ELj5ELj4ELb0EL18RadixRankAlgorithm2EdEvPKT4_Pijj ; -- Begin function _Z11rank_kernelILj33ELj5ELj4ELb0EL18RadixRankAlgorithm2EdEvPKT4_Pijj
	.globl	_Z11rank_kernelILj33ELj5ELj4ELb0EL18RadixRankAlgorithm2EdEvPKT4_Pijj
	.p2align	8
	.type	_Z11rank_kernelILj33ELj5ELj4ELb0EL18RadixRankAlgorithm2EdEvPKT4_Pijj,@function
_Z11rank_kernelILj33ELj5ELj4ELb0EL18RadixRankAlgorithm2EdEvPKT4_Pijj: ; @_Z11rank_kernelILj33ELj5ELj4ELb0EL18RadixRankAlgorithm2EdEvPKT4_Pijj
; %bb.0:
	s_load_dwordx4 s[8:11], s[4:5], 0x0
	s_load_dwordx2 s[12:13], s[4:5], 0x10
	s_mulk_i32 s6, 0xa5
	s_mov_b32 s7, 0
	v_and_b32_e32 v2, 0x3ff, v0
	s_lshl_b64 s[0:1], s[6:7], 3
	s_waitcnt lgkmcnt(0)
	s_add_u32 s0, s8, s0
	v_mul_u32_u24_e32 v3, 5, v2
	s_addc_u32 s1, s9, s1
	v_lshlrev_b32_e32 v1, 3, v3
	global_load_dwordx4 v[4:7], v1, s[0:1]
	global_load_dwordx4 v[8:11], v1, s[0:1] offset:16
	global_load_dwordx2 v[18:19], v1, s[0:1] offset:32
	v_mbcnt_lo_u32_b32 v1, -1, 0
	s_load_dword s5, s[4:5], 0x24
	v_cmp_gt_u32_e32 vcc, 64, v2
	v_mbcnt_hi_u32_b32 v12, -1, v1
	v_cndmask_b32_e64 v14, 64, 33, vcc
	v_bfe_u32 v1, v0, 20, 10
	v_bfe_u32 v16, v0, 10, 10
	v_lshlrev_b32_e32 v0, 3, v12
	v_lshlrev_b32_e32 v17, 3, v14
	v_add_u32_e32 v22, v0, v17
	v_mul_u32_u24_e32 v13, 5, v12
	v_add_u32_e32 v23, v22, v17
	v_lshlrev_b32_e32 v21, 3, v13
	v_add_u32_e32 v24, v23, v17
	s_waitcnt lgkmcnt(0)
	s_lshr_b32 s1, s5, 16
	v_add_u32_e32 v25, v24, v17
	v_mul_u32_u24_e32 v17, s1, v1
	s_and_b32 s4, s13, 63
	s_cmp_lg_u32 s4, 0
	s_cselect_b64 s[2:3], -1, 0
	v_mov_b32_e32 v20, 0
	s_mov_b32 s0, -1
	v_lshlrev_b32_e32 v15, 2, v2
	s_and_b64 vcc, exec, s[2:3]
	s_waitcnt vmcnt(2)
	ds_write2_b64 v21, v[4:5], v[6:7] offset1:1
	s_waitcnt vmcnt(1)
	ds_write2_b64 v21, v[8:9], v[10:11] offset0:2 offset1:3
	s_waitcnt vmcnt(0)
	ds_write_b64 v21, v[18:19] offset:32
	; wave barrier
	ds_read_b64 v[10:11], v0
	ds_read_b64 v[8:9], v22
	;; [unrolled: 1-line block ×5, first 2 shown]
	s_waitcnt lgkmcnt(0)
	; wave barrier
	s_waitcnt lgkmcnt(0)
	ds_write_b32 v15, v20 offset:4
	s_waitcnt lgkmcnt(0)
	; wave barrier
	s_waitcnt lgkmcnt(0)
	s_cbranch_vccz .LBB60_2
; %bb.1:
	v_bfrev_b32_e32 v18, 1
	v_cmp_lt_i64_e32 vcc, -1, v[10:11]
	v_cndmask_b32_e32 v19, -1, v18, vcc
	v_ashrrev_i32_e32 v20, 31, v11
	v_xor_b32_e32 v11, v19, v11
	v_xor_b32_e32 v10, v20, v10
	s_brev_b32 s1, -2
	v_cmp_ne_u64_e32 vcc, s[0:1], v[10:11]
	s_and_b32 s0, s12, 63
	s_add_i32 s0, s0, s4
	v_cndmask_b32_e32 v11, v18, v11, vcc
	v_cndmask_b32_e32 v10, 0, v10, vcc
	s_sub_i32 s0, 64, s0
	v_lshlrev_b64 v[10:11], s0, v[10:11]
	s_sub_i32 s0, 64, s4
	v_lshrrev_b64 v[10:11], s0, v[10:11]
	s_branch .LBB60_3
.LBB60_2:
	v_pk_mov_b32 v[10:11], 0, 0
.LBB60_3:
	s_and_b32 s0, s5, 0xffff
	v_add_u32_e32 v11, v17, v16
	v_mad_u64_u32 v[16:17], s[0:1], v11, s0, v[2:3]
	v_and_b32_e32 v11, 1, v10
	v_add_co_u32_e32 v17, vcc, -1, v11
	v_addc_co_u32_e64 v19, s[0:1], 0, -1, vcc
	v_cmp_ne_u32_e32 vcc, 0, v11
	v_lshlrev_b32_e32 v21, 30, v10
	v_mov_b32_e32 v20, 0
	v_xor_b32_e32 v11, vcc_hi, v19
	v_not_b32_e32 v19, v21
	v_xor_b32_e32 v17, vcc_lo, v17
	v_cmp_gt_i64_e32 vcc, 0, v[20:21]
	v_ashrrev_i32_e32 v19, 31, v19
	v_and_b32_e32 v11, exec_hi, v11
	v_xor_b32_e32 v21, vcc_hi, v19
	v_and_b32_e32 v17, exec_lo, v17
	v_xor_b32_e32 v19, vcc_lo, v19
	v_and_b32_e32 v11, v11, v21
	v_lshlrev_b32_e32 v21, 29, v10
	v_and_b32_e32 v17, v17, v19
	v_not_b32_e32 v19, v21
	v_cmp_gt_i64_e32 vcc, 0, v[20:21]
	v_ashrrev_i32_e32 v19, 31, v19
	v_xor_b32_e32 v21, vcc_hi, v19
	v_lshrrev_b32_e32 v18, 6, v16
	v_and_b32_e32 v11, v11, v21
	v_lshlrev_b32_e32 v21, 28, v10
	v_add_lshl_u32 v16, v18, v10, 2
	v_not_b32_e32 v10, v21
	v_xor_b32_e32 v19, vcc_lo, v19
	v_cmp_gt_i64_e32 vcc, 0, v[20:21]
	v_ashrrev_i32_e32 v10, 31, v10
	v_and_b32_e32 v17, v17, v19
	v_xor_b32_e32 v19, vcc_hi, v10
	v_xor_b32_e32 v10, vcc_lo, v10
	v_and_b32_e32 v10, v17, v10
	v_and_b32_e32 v11, v11, v19
	v_mbcnt_lo_u32_b32 v17, v10, 0
	v_mbcnt_hi_u32_b32 v17, v11, v17
	v_cmp_eq_u32_e32 vcc, 0, v17
	v_cmp_ne_u64_e64 s[0:1], 0, v[10:11]
	s_and_b64 s[8:9], s[0:1], vcc
	; wave barrier
	s_and_saveexec_b64 s[0:1], s[8:9]
	s_cbranch_execz .LBB60_5
; %bb.4:
	v_bcnt_u32_b32 v10, v10, 0
	v_bcnt_u32_b32 v10, v11, v10
	ds_write_b32 v16, v10 offset:4
.LBB60_5:
	s_or_b64 exec, exec, s[0:1]
	v_cndmask_b32_e64 v10, 0, 1, s[2:3]
	v_cmp_ne_u32_e64 s[0:1], 1, v10
	s_andn2_b64 vcc, exec, s[2:3]
	; wave barrier
	s_cbranch_vccnz .LBB60_7
; %bb.6:
	v_bfrev_b32_e32 v10, 1
	v_cmp_lt_i64_e32 vcc, -1, v[8:9]
	s_mov_b32 s2, -1
	v_cndmask_b32_e32 v11, -1, v10, vcc
	v_ashrrev_i32_e32 v19, 31, v9
	s_brev_b32 s3, -2
	v_xor_b32_e32 v9, v11, v9
	v_xor_b32_e32 v8, v19, v8
	v_cmp_ne_u64_e32 vcc, s[2:3], v[8:9]
	s_and_b32 s2, s12, 63
	s_add_i32 s2, s2, s4
	v_cndmask_b32_e32 v9, v10, v9, vcc
	v_cndmask_b32_e32 v8, 0, v8, vcc
	s_sub_i32 s2, 64, s2
	v_lshlrev_b64 v[8:9], s2, v[8:9]
	s_sub_i32 s2, 64, s4
	v_lshrrev_b64 v[8:9], s2, v[8:9]
	s_branch .LBB60_8
.LBB60_7:
	v_pk_mov_b32 v[8:9], 0, 0
.LBB60_8:
	v_and_b32_e32 v9, 1, v8
	v_add_co_u32_e32 v19, vcc, -1, v9
	v_addc_co_u32_e64 v21, s[2:3], 0, -1, vcc
	v_cmp_ne_u32_e32 vcc, 0, v9
	v_mov_b32_e32 v20, 0
	v_xor_b32_e32 v9, vcc_hi, v21
	v_lshlrev_b32_e32 v21, 30, v8
	v_xor_b32_e32 v19, vcc_lo, v19
	v_cmp_gt_i64_e32 vcc, 0, v[20:21]
	v_not_b32_e32 v21, v21
	v_ashrrev_i32_e32 v21, 31, v21
	v_and_b32_e32 v19, exec_lo, v19
	v_xor_b32_e32 v22, vcc_hi, v21
	v_xor_b32_e32 v21, vcc_lo, v21
	v_and_b32_e32 v19, v19, v21
	v_lshlrev_b32_e32 v21, 29, v8
	v_cmp_gt_i64_e32 vcc, 0, v[20:21]
	v_not_b32_e32 v21, v21
	v_and_b32_e32 v9, exec_hi, v9
	v_ashrrev_i32_e32 v21, 31, v21
	v_and_b32_e32 v9, v9, v22
	v_xor_b32_e32 v22, vcc_hi, v21
	v_xor_b32_e32 v21, vcc_lo, v21
	v_and_b32_e32 v19, v19, v21
	v_lshlrev_b32_e32 v21, 28, v8
	v_add_lshl_u32 v11, v18, v8, 2
	v_not_b32_e32 v8, v21
	v_cmp_gt_i64_e32 vcc, 0, v[20:21]
	v_ashrrev_i32_e32 v8, 31, v8
	v_xor_b32_e32 v20, vcc_hi, v8
	v_xor_b32_e32 v8, vcc_lo, v8
	ds_read_b32 v10, v11 offset:4
	v_and_b32_e32 v9, v9, v22
	v_and_b32_e32 v8, v19, v8
	;; [unrolled: 1-line block ×3, first 2 shown]
	v_mbcnt_lo_u32_b32 v19, v8, 0
	v_mbcnt_hi_u32_b32 v19, v9, v19
	v_cmp_eq_u32_e32 vcc, 0, v19
	v_cmp_ne_u64_e64 s[2:3], 0, v[8:9]
	s_and_b64 s[8:9], s[2:3], vcc
	; wave barrier
	s_and_saveexec_b64 s[2:3], s[8:9]
	s_cbranch_execz .LBB60_10
; %bb.9:
	v_bcnt_u32_b32 v8, v8, 0
	v_bcnt_u32_b32 v8, v9, v8
	s_waitcnt lgkmcnt(0)
	v_add_u32_e32 v8, v10, v8
	ds_write_b32 v11, v8 offset:4
.LBB60_10:
	s_or_b64 exec, exec, s[2:3]
	s_and_b64 vcc, exec, s[0:1]
	; wave barrier
	s_cbranch_vccnz .LBB60_12
; %bb.11:
	v_bfrev_b32_e32 v8, 1
	v_cmp_lt_i64_e32 vcc, -1, v[6:7]
	s_mov_b32 s2, -1
	v_cndmask_b32_e32 v9, -1, v8, vcc
	v_ashrrev_i32_e32 v20, 31, v7
	s_brev_b32 s3, -2
	v_xor_b32_e32 v7, v9, v7
	v_xor_b32_e32 v6, v20, v6
	v_cmp_ne_u64_e32 vcc, s[2:3], v[6:7]
	s_and_b32 s2, s12, 63
	s_add_i32 s2, s2, s4
	v_cndmask_b32_e32 v7, v8, v7, vcc
	v_cndmask_b32_e32 v6, 0, v6, vcc
	s_sub_i32 s2, 64, s2
	v_lshlrev_b64 v[6:7], s2, v[6:7]
	s_sub_i32 s2, 64, s4
	v_lshrrev_b64 v[6:7], s2, v[6:7]
	s_branch .LBB60_13
.LBB60_12:
	v_pk_mov_b32 v[6:7], 0, 0
.LBB60_13:
	v_and_b32_e32 v7, 1, v6
	v_add_co_u32_e32 v21, vcc, -1, v7
	v_addc_co_u32_e64 v22, s[2:3], 0, -1, vcc
	v_cmp_ne_u32_e32 vcc, 0, v7
	v_xor_b32_e32 v21, vcc_lo, v21
	v_mov_b32_e32 v20, 0
	v_xor_b32_e32 v7, vcc_hi, v22
	v_and_b32_e32 v22, exec_lo, v21
	v_lshlrev_b32_e32 v21, 30, v6
	v_cmp_gt_i64_e32 vcc, 0, v[20:21]
	v_not_b32_e32 v21, v21
	v_ashrrev_i32_e32 v21, 31, v21
	v_xor_b32_e32 v23, vcc_hi, v21
	v_xor_b32_e32 v21, vcc_lo, v21
	v_and_b32_e32 v22, v22, v21
	v_lshlrev_b32_e32 v21, 29, v6
	v_cmp_gt_i64_e32 vcc, 0, v[20:21]
	v_not_b32_e32 v21, v21
	v_and_b32_e32 v7, exec_hi, v7
	v_ashrrev_i32_e32 v21, 31, v21
	v_and_b32_e32 v7, v7, v23
	v_xor_b32_e32 v23, vcc_hi, v21
	v_xor_b32_e32 v21, vcc_lo, v21
	v_and_b32_e32 v22, v22, v21
	v_lshlrev_b32_e32 v21, 28, v6
	v_add_lshl_u32 v9, v18, v6, 2
	v_not_b32_e32 v6, v21
	v_cmp_gt_i64_e32 vcc, 0, v[20:21]
	v_ashrrev_i32_e32 v6, 31, v6
	v_xor_b32_e32 v20, vcc_hi, v6
	v_xor_b32_e32 v6, vcc_lo, v6
	ds_read_b32 v8, v9 offset:4
	v_and_b32_e32 v7, v7, v23
	v_and_b32_e32 v6, v22, v6
	;; [unrolled: 1-line block ×3, first 2 shown]
	v_mbcnt_lo_u32_b32 v20, v6, 0
	v_mbcnt_hi_u32_b32 v20, v7, v20
	v_cmp_eq_u32_e32 vcc, 0, v20
	v_cmp_ne_u64_e64 s[2:3], 0, v[6:7]
	s_and_b64 s[8:9], s[2:3], vcc
	; wave barrier
	s_and_saveexec_b64 s[2:3], s[8:9]
	s_cbranch_execz .LBB60_15
; %bb.14:
	v_bcnt_u32_b32 v6, v6, 0
	v_bcnt_u32_b32 v6, v7, v6
	s_waitcnt lgkmcnt(0)
	v_add_u32_e32 v6, v8, v6
	ds_write_b32 v9, v6 offset:4
.LBB60_15:
	s_or_b64 exec, exec, s[2:3]
	s_and_b64 vcc, exec, s[0:1]
	; wave barrier
	s_cbranch_vccnz .LBB60_17
; %bb.16:
	v_bfrev_b32_e32 v6, 1
	v_cmp_lt_i64_e32 vcc, -1, v[4:5]
	s_mov_b32 s2, -1
	v_cndmask_b32_e32 v7, -1, v6, vcc
	v_ashrrev_i32_e32 v21, 31, v5
	s_brev_b32 s3, -2
	v_xor_b32_e32 v5, v7, v5
	v_xor_b32_e32 v4, v21, v4
	v_cmp_ne_u64_e32 vcc, s[2:3], v[4:5]
	s_and_b32 s2, s12, 63
	s_add_i32 s2, s2, s4
	v_cndmask_b32_e32 v5, v6, v5, vcc
	v_cndmask_b32_e32 v4, 0, v4, vcc
	s_sub_i32 s2, 64, s2
	v_lshlrev_b64 v[4:5], s2, v[4:5]
	s_sub_i32 s2, 64, s4
	v_lshrrev_b64 v[4:5], s2, v[4:5]
	s_branch .LBB60_18
.LBB60_17:
	v_pk_mov_b32 v[4:5], 0, 0
.LBB60_18:
	v_and_b32_e32 v5, 1, v4
	v_add_co_u32_e32 v21, vcc, -1, v5
	v_addc_co_u32_e64 v23, s[2:3], 0, -1, vcc
	v_cmp_ne_u32_e32 vcc, 0, v5
	v_mov_b32_e32 v22, 0
	v_xor_b32_e32 v5, vcc_hi, v23
	v_lshlrev_b32_e32 v23, 30, v4
	v_xor_b32_e32 v21, vcc_lo, v21
	v_cmp_gt_i64_e32 vcc, 0, v[22:23]
	v_not_b32_e32 v23, v23
	v_ashrrev_i32_e32 v23, 31, v23
	v_and_b32_e32 v21, exec_lo, v21
	v_xor_b32_e32 v24, vcc_hi, v23
	v_xor_b32_e32 v23, vcc_lo, v23
	v_and_b32_e32 v21, v21, v23
	v_lshlrev_b32_e32 v23, 29, v4
	v_cmp_gt_i64_e32 vcc, 0, v[22:23]
	v_not_b32_e32 v23, v23
	v_and_b32_e32 v5, exec_hi, v5
	v_ashrrev_i32_e32 v23, 31, v23
	v_and_b32_e32 v5, v5, v24
	v_xor_b32_e32 v24, vcc_hi, v23
	v_xor_b32_e32 v23, vcc_lo, v23
	v_and_b32_e32 v21, v21, v23
	v_lshlrev_b32_e32 v23, 28, v4
	v_add_lshl_u32 v7, v18, v4, 2
	v_not_b32_e32 v4, v23
	v_cmp_gt_i64_e32 vcc, 0, v[22:23]
	v_ashrrev_i32_e32 v4, 31, v4
	v_xor_b32_e32 v22, vcc_hi, v4
	v_xor_b32_e32 v4, vcc_lo, v4
	ds_read_b32 v6, v7 offset:4
	v_and_b32_e32 v5, v5, v24
	v_and_b32_e32 v4, v21, v4
	;; [unrolled: 1-line block ×3, first 2 shown]
	v_mbcnt_lo_u32_b32 v21, v4, 0
	v_mbcnt_hi_u32_b32 v21, v5, v21
	v_cmp_eq_u32_e32 vcc, 0, v21
	v_cmp_ne_u64_e64 s[2:3], 0, v[4:5]
	s_and_b64 s[8:9], s[2:3], vcc
	; wave barrier
	s_and_saveexec_b64 s[2:3], s[8:9]
	s_cbranch_execz .LBB60_20
; %bb.19:
	v_bcnt_u32_b32 v4, v4, 0
	v_bcnt_u32_b32 v4, v5, v4
	s_waitcnt lgkmcnt(0)
	v_add_u32_e32 v4, v6, v4
	ds_write_b32 v7, v4 offset:4
.LBB60_20:
	s_or_b64 exec, exec, s[2:3]
	s_and_b64 vcc, exec, s[0:1]
	; wave barrier
	s_cbranch_vccnz .LBB60_22
; %bb.21:
	v_bfrev_b32_e32 v4, 1
	v_cmp_lt_i64_e32 vcc, -1, v[0:1]
	s_mov_b32 s0, -1
	v_cndmask_b32_e32 v5, -1, v4, vcc
	v_ashrrev_i32_e32 v22, 31, v1
	s_brev_b32 s1, -2
	v_xor_b32_e32 v1, v5, v1
	v_xor_b32_e32 v0, v22, v0
	v_cmp_ne_u64_e32 vcc, s[0:1], v[0:1]
	s_and_b32 s0, s12, 63
	s_add_i32 s0, s0, s4
	v_cndmask_b32_e32 v1, v4, v1, vcc
	v_cndmask_b32_e32 v0, 0, v0, vcc
	s_sub_i32 s0, 64, s0
	v_lshlrev_b64 v[0:1], s0, v[0:1]
	s_sub_i32 s0, 64, s4
	v_lshrrev_b64 v[0:1], s0, v[0:1]
	s_branch .LBB60_23
.LBB60_22:
	v_pk_mov_b32 v[0:1], 0, 0
.LBB60_23:
	v_and_b32_e32 v1, 1, v0
	v_add_lshl_u32 v5, v18, v0, 2
	v_add_co_u32_e32 v18, vcc, -1, v1
	v_addc_co_u32_e64 v23, s[0:1], 0, -1, vcc
	v_cmp_ne_u32_e32 vcc, 0, v1
	v_mov_b32_e32 v22, 0
	v_xor_b32_e32 v1, vcc_hi, v23
	v_lshlrev_b32_e32 v23, 30, v0
	v_xor_b32_e32 v18, vcc_lo, v18
	v_cmp_gt_i64_e32 vcc, 0, v[22:23]
	v_not_b32_e32 v23, v23
	v_ashrrev_i32_e32 v23, 31, v23
	v_and_b32_e32 v18, exec_lo, v18
	v_xor_b32_e32 v24, vcc_hi, v23
	v_xor_b32_e32 v23, vcc_lo, v23
	v_and_b32_e32 v18, v18, v23
	v_lshlrev_b32_e32 v23, 29, v0
	v_cmp_gt_i64_e32 vcc, 0, v[22:23]
	v_not_b32_e32 v23, v23
	v_and_b32_e32 v1, exec_hi, v1
	v_ashrrev_i32_e32 v23, 31, v23
	v_and_b32_e32 v1, v1, v24
	v_xor_b32_e32 v24, vcc_hi, v23
	v_xor_b32_e32 v23, vcc_lo, v23
	v_and_b32_e32 v18, v18, v23
	v_lshlrev_b32_e32 v23, 28, v0
	v_not_b32_e32 v0, v23
	v_cmp_gt_i64_e32 vcc, 0, v[22:23]
	v_ashrrev_i32_e32 v0, 31, v0
	v_xor_b32_e32 v22, vcc_hi, v0
	v_xor_b32_e32 v0, vcc_lo, v0
	ds_read_b32 v4, v5 offset:4
	v_and_b32_e32 v1, v1, v24
	v_and_b32_e32 v0, v18, v0
	v_and_b32_e32 v1, v1, v22
	v_mbcnt_lo_u32_b32 v18, v0, 0
	v_mbcnt_hi_u32_b32 v18, v1, v18
	v_cmp_eq_u32_e32 vcc, 0, v18
	v_cmp_ne_u64_e64 s[0:1], 0, v[0:1]
	s_and_b64 s[2:3], s[0:1], vcc
	; wave barrier
	s_and_saveexec_b64 s[0:1], s[2:3]
	s_cbranch_execz .LBB60_25
; %bb.24:
	v_bcnt_u32_b32 v0, v0, 0
	v_bcnt_u32_b32 v0, v1, v0
	s_waitcnt lgkmcnt(0)
	v_add_u32_e32 v0, v4, v0
	ds_write_b32 v5, v0 offset:4
.LBB60_25:
	s_or_b64 exec, exec, s[0:1]
	; wave barrier
	s_waitcnt lgkmcnt(0)
	; wave barrier
	s_waitcnt lgkmcnt(0)
	ds_read_b32 v0, v15 offset:4
	v_and_b32_e32 v1, 15, v12
	v_cmp_ne_u32_e32 vcc, 0, v1
	s_waitcnt lgkmcnt(0)
	v_mov_b32_dpp v22, v0 row_shr:1 row_mask:0xf bank_mask:0xf
	v_cndmask_b32_e32 v22, 0, v22, vcc
	v_add_u32_e32 v0, v22, v0
	v_cmp_lt_u32_e32 vcc, 1, v1
	s_nop 0
	v_mov_b32_dpp v22, v0 row_shr:2 row_mask:0xf bank_mask:0xf
	v_cndmask_b32_e32 v22, 0, v22, vcc
	v_add_u32_e32 v0, v0, v22
	v_cmp_lt_u32_e32 vcc, 3, v1
	s_nop 0
	;; [unrolled: 5-line block ×3, first 2 shown]
	v_mov_b32_dpp v22, v0 row_shr:8 row_mask:0xf bank_mask:0xf
	v_cndmask_b32_e32 v1, 0, v22, vcc
	v_add_u32_e32 v0, v0, v1
	v_bfe_i32 v22, v12, 4, 1
	v_cmp_lt_u32_e32 vcc, 31, v12
	v_mov_b32_dpp v1, v0 row_bcast:15 row_mask:0xf bank_mask:0xf
	v_and_b32_e32 v1, v22, v1
	v_add_u32_e32 v0, v0, v1
	s_nop 1
	v_mov_b32_dpp v1, v0 row_bcast:31 row_mask:0xf bank_mask:0xf
	v_cndmask_b32_e32 v1, 0, v1, vcc
	v_add_u32_e32 v0, v0, v1
	v_cmp_eq_u32_e32 vcc, 32, v2
	s_and_saveexec_b64 s[0:1], vcc
	s_cbranch_execz .LBB60_27
; %bb.26:
	v_mov_b32_e32 v1, 0
	ds_write_b32 v1, v0
.LBB60_27:
	s_or_b64 exec, exec, s[0:1]
	v_add_u32_e32 v1, -1, v12
	v_and_b32_e32 v2, 64, v12
	v_cmp_lt_i32_e32 vcc, v1, v2
	v_cndmask_b32_e32 v1, v1, v12, vcc
	v_lshlrev_b32_e32 v1, 2, v1
	ds_bpermute_b32 v0, v1, v0
	v_cmp_ne_u32_e32 vcc, 0, v12
	s_waitcnt lgkmcnt(0)
	; wave barrier
	s_waitcnt lgkmcnt(0)
	s_lshl_b64 s[0:1], s[6:7], 2
	v_cndmask_b32_e32 v0, 0, v0, vcc
	ds_write_b32 v15, v0 offset:4
	s_waitcnt lgkmcnt(0)
	; wave barrier
	s_waitcnt lgkmcnt(0)
	ds_read_b32 v0, v16 offset:4
	ds_read_b32 v1, v11 offset:4
	;; [unrolled: 1-line block ×5, first 2 shown]
	s_waitcnt lgkmcnt(4)
	v_add_u32_e32 v0, v0, v17
	s_waitcnt lgkmcnt(0)
	; wave barrier
	s_waitcnt lgkmcnt(0)
	v_add3_u32 v1, v19, v10, v1
	v_add3_u32 v4, v18, v4, v5
	v_lshlrev_b32_e32 v5, 2, v12
	ds_write_b32 v5, v0
	v_lshlrev_b32_e32 v0, 2, v14
	v_add_u32_e32 v5, v5, v0
	v_add3_u32 v2, v20, v8, v2
	ds_write_b32 v5, v1
	v_add_u32_e32 v1, v5, v0
	ds_write_b32 v1, v2
	v_add_u32_e32 v1, v1, v0
	v_add_u32_e32 v0, v1, v0
	v_add3_u32 v6, v21, v6, v7
	ds_write_b32 v0, v4
	v_lshlrev_b32_e32 v0, 2, v13
	ds_write_b32 v1, v6
	; wave barrier
	ds_read2_b32 v[4:5], v0 offset1:1
	ds_read2_b32 v[6:7], v0 offset0:2 offset1:3
	ds_read_b32 v0, v0 offset:16
	s_add_u32 s0, s10, s0
	s_addc_u32 s1, s11, s1
	v_lshlrev_b32_e32 v1, 2, v3
	s_waitcnt lgkmcnt(1)
	global_store_dwordx4 v1, v[4:7], s[0:1]
	s_waitcnt lgkmcnt(0)
	global_store_dword v1, v0, s[0:1] offset:16
	s_endpgm
	.section	.rodata,"a",@progbits
	.p2align	6, 0x0
	.amdhsa_kernel _Z11rank_kernelILj33ELj5ELj4ELb0EL18RadixRankAlgorithm2EdEvPKT4_Pijj
		.amdhsa_group_segment_fixed_size 1328
		.amdhsa_private_segment_fixed_size 0
		.amdhsa_kernarg_size 280
		.amdhsa_user_sgpr_count 6
		.amdhsa_user_sgpr_private_segment_buffer 1
		.amdhsa_user_sgpr_dispatch_ptr 0
		.amdhsa_user_sgpr_queue_ptr 0
		.amdhsa_user_sgpr_kernarg_segment_ptr 1
		.amdhsa_user_sgpr_dispatch_id 0
		.amdhsa_user_sgpr_flat_scratch_init 0
		.amdhsa_user_sgpr_kernarg_preload_length 0
		.amdhsa_user_sgpr_kernarg_preload_offset 0
		.amdhsa_user_sgpr_private_segment_size 0
		.amdhsa_uses_dynamic_stack 0
		.amdhsa_system_sgpr_private_segment_wavefront_offset 0
		.amdhsa_system_sgpr_workgroup_id_x 1
		.amdhsa_system_sgpr_workgroup_id_y 0
		.amdhsa_system_sgpr_workgroup_id_z 0
		.amdhsa_system_sgpr_workgroup_info 0
		.amdhsa_system_vgpr_workitem_id 2
		.amdhsa_next_free_vgpr 26
		.amdhsa_next_free_sgpr 14
		.amdhsa_accum_offset 28
		.amdhsa_reserve_vcc 1
		.amdhsa_reserve_flat_scratch 0
		.amdhsa_float_round_mode_32 0
		.amdhsa_float_round_mode_16_64 0
		.amdhsa_float_denorm_mode_32 3
		.amdhsa_float_denorm_mode_16_64 3
		.amdhsa_dx10_clamp 1
		.amdhsa_ieee_mode 1
		.amdhsa_fp16_overflow 0
		.amdhsa_tg_split 0
		.amdhsa_exception_fp_ieee_invalid_op 0
		.amdhsa_exception_fp_denorm_src 0
		.amdhsa_exception_fp_ieee_div_zero 0
		.amdhsa_exception_fp_ieee_overflow 0
		.amdhsa_exception_fp_ieee_underflow 0
		.amdhsa_exception_fp_ieee_inexact 0
		.amdhsa_exception_int_div_zero 0
	.end_amdhsa_kernel
	.section	.text._Z11rank_kernelILj33ELj5ELj4ELb0EL18RadixRankAlgorithm2EdEvPKT4_Pijj,"axG",@progbits,_Z11rank_kernelILj33ELj5ELj4ELb0EL18RadixRankAlgorithm2EdEvPKT4_Pijj,comdat
.Lfunc_end60:
	.size	_Z11rank_kernelILj33ELj5ELj4ELb0EL18RadixRankAlgorithm2EdEvPKT4_Pijj, .Lfunc_end60-_Z11rank_kernelILj33ELj5ELj4ELb0EL18RadixRankAlgorithm2EdEvPKT4_Pijj
                                        ; -- End function
	.section	.AMDGPU.csdata,"",@progbits
; Kernel info:
; codeLenInByte = 2416
; NumSgprs: 18
; NumVgprs: 26
; NumAgprs: 0
; TotalNumVgprs: 26
; ScratchSize: 0
; MemoryBound: 0
; FloatMode: 240
; IeeeMode: 1
; LDSByteSize: 1328 bytes/workgroup (compile time only)
; SGPRBlocks: 2
; VGPRBlocks: 3
; NumSGPRsForWavesPerEU: 18
; NumVGPRsForWavesPerEU: 26
; AccumOffset: 28
; Occupancy: 8
; WaveLimiterHint : 0
; COMPUTE_PGM_RSRC2:SCRATCH_EN: 0
; COMPUTE_PGM_RSRC2:USER_SGPR: 6
; COMPUTE_PGM_RSRC2:TRAP_HANDLER: 0
; COMPUTE_PGM_RSRC2:TGID_X_EN: 1
; COMPUTE_PGM_RSRC2:TGID_Y_EN: 0
; COMPUTE_PGM_RSRC2:TGID_Z_EN: 0
; COMPUTE_PGM_RSRC2:TIDIG_COMP_CNT: 2
; COMPUTE_PGM_RSRC3_GFX90A:ACCUM_OFFSET: 6
; COMPUTE_PGM_RSRC3_GFX90A:TG_SPLIT: 0
	.section	.text._Z11rank_kernelILj512ELj2ELj4ELb0EL18RadixRankAlgorithm2EfEvPKT4_Pijj,"axG",@progbits,_Z11rank_kernelILj512ELj2ELj4ELb0EL18RadixRankAlgorithm2EfEvPKT4_Pijj,comdat
	.protected	_Z11rank_kernelILj512ELj2ELj4ELb0EL18RadixRankAlgorithm2EfEvPKT4_Pijj ; -- Begin function _Z11rank_kernelILj512ELj2ELj4ELb0EL18RadixRankAlgorithm2EfEvPKT4_Pijj
	.globl	_Z11rank_kernelILj512ELj2ELj4ELb0EL18RadixRankAlgorithm2EfEvPKT4_Pijj
	.p2align	8
	.type	_Z11rank_kernelILj512ELj2ELj4ELb0EL18RadixRankAlgorithm2EfEvPKT4_Pijj,@function
_Z11rank_kernelILj512ELj2ELj4ELb0EL18RadixRankAlgorithm2EfEvPKT4_Pijj: ; @_Z11rank_kernelILj512ELj2ELj4ELb0EL18RadixRankAlgorithm2EfEvPKT4_Pijj
; %bb.0:
	s_load_dwordx4 s[0:3], s[4:5], 0x0
	s_load_dwordx2 s[10:11], s[4:5], 0x10
	s_lshl_b32 s6, s6, 10
	s_mov_b32 s7, 0
	s_lshl_b64 s[6:7], s[6:7], 2
	v_and_b32_e32 v2, 0x3ff, v0
	s_waitcnt lgkmcnt(0)
	s_add_u32 s0, s0, s6
	s_addc_u32 s1, s1, s7
	v_lshlrev_b32_e32 v1, 3, v2
	global_load_dwordx2 v[12:13], v1, s[0:1]
	s_load_dword s1, s[4:5], 0x24
	v_mbcnt_lo_u32_b32 v1, -1, 0
	s_movk_i32 s0, 0x380
	v_mbcnt_hi_u32_b32 v8, -1, v1
	v_lshlrev_b32_e32 v3, 1, v2
	v_and_b32_e32 v11, 0x1c0, v2
	v_bfe_u32 v1, v0, 10, 10
	v_bfe_u32 v0, v0, 20, 10
	v_add_u32_e32 v5, v8, v11
	v_and_or_b32 v7, v3, s0, v8
	s_waitcnt lgkmcnt(0)
	s_lshr_b32 s0, s1, 16
	v_lshlrev_b32_e32 v6, 1, v5
	v_bfe_u32 v5, v5, 4, 27
	v_lshrrev_b32_e32 v9, 5, v7
	v_add_u32_e32 v15, 64, v7
	s_and_b32 s1, s1, 0xffff
	v_mad_u32_u24 v0, v0, s0, v1
	v_add_lshl_u32 v6, v5, v6, 2
	v_add_lshl_u32 v7, v9, v7, 2
	v_lshrrev_b32_e32 v5, 5, v15
	v_mad_u64_u32 v[0:1], s[0:1], v0, s1, v[2:3]
	v_add_lshl_u32 v9, v5, v15, 2
	v_lshrrev_b32_e32 v15, 6, v0
	v_bfrev_b32_e32 v14, 1
	s_and_b32 s11, s11, 31
	s_cmp_eq_u32 s11, 0
	s_brev_b32 s8, -2
	s_cselect_b64 s[4:5], -1, 0
	s_and_b32 s0, s10, 31
	s_add_i32 s0, s0, s11
	s_sub_i32 s10, 32, s0
	s_sub_i32 s9, 32, s11
	v_mov_b32_e32 v4, 0
	v_lshlrev_b32_e32 v10, 2, v2
	s_waitcnt vmcnt(0)
	ds_write2_b32 v6, v12, v13 offset1:1
	; wave barrier
	ds_read_b32 v0, v7
	ds_read_b32 v16, v9
	s_waitcnt lgkmcnt(0)
	s_barrier
	v_cmp_lt_i32_e32 vcc, -1, v0
	v_cndmask_b32_e32 v1, -1, v14, vcc
	v_xor_b32_e32 v0, v1, v0
	v_cmp_ne_u32_e32 vcc, s8, v0
	v_cndmask_b32_e32 v0, v14, v0, vcc
	v_lshlrev_b32_e32 v0, s10, v0
	v_lshrrev_b32_e32 v0, s9, v0
	v_cndmask_b32_e64 v0, v0, 0, s[4:5]
	v_lshl_add_u32 v1, v0, 3, v0
	v_and_b32_e32 v13, 1, v0
	v_add_lshl_u32 v12, v15, v1, 2
	v_add_co_u32_e32 v1, vcc, -1, v13
	v_lshlrev_b32_e32 v5, 30, v0
	v_addc_co_u32_e64 v17, s[0:1], 0, -1, vcc
	v_cmp_ne_u32_e32 vcc, 0, v13
	v_cmp_gt_i64_e64 s[0:1], 0, v[4:5]
	v_not_b32_e32 v13, v5
	v_lshlrev_b32_e32 v5, 29, v0
	v_xor_b32_e32 v17, vcc_hi, v17
	v_xor_b32_e32 v1, vcc_lo, v1
	v_ashrrev_i32_e32 v13, 31, v13
	v_cmp_gt_i64_e32 vcc, 0, v[4:5]
	v_not_b32_e32 v18, v5
	v_lshlrev_b32_e32 v5, 28, v0
	v_and_b32_e32 v0, exec_hi, v17
	v_and_b32_e32 v1, exec_lo, v1
	v_xor_b32_e32 v17, s1, v13
	v_xor_b32_e32 v13, s0, v13
	v_ashrrev_i32_e32 v18, 31, v18
	v_cmp_gt_i64_e64 s[0:1], 0, v[4:5]
	v_not_b32_e32 v5, v5
	v_and_b32_e32 v0, v0, v17
	v_and_b32_e32 v1, v1, v13
	v_xor_b32_e32 v13, vcc_hi, v18
	v_xor_b32_e32 v17, vcc_lo, v18
	v_ashrrev_i32_e32 v5, 31, v5
	v_and_b32_e32 v0, v0, v13
	v_and_b32_e32 v13, v1, v17
	v_xor_b32_e32 v1, s1, v5
	v_xor_b32_e32 v5, s0, v5
	v_and_b32_e32 v1, v0, v1
	v_and_b32_e32 v0, v13, v5
	v_mbcnt_lo_u32_b32 v5, v0, 0
	v_mbcnt_hi_u32_b32 v13, v1, v5
	v_cmp_eq_u32_e32 vcc, 0, v13
	v_cmp_ne_u64_e64 s[0:1], 0, v[0:1]
	s_and_b64 s[12:13], s[0:1], vcc
	ds_write_b32 v10, v4 offset:32
	s_waitcnt lgkmcnt(0)
	s_barrier
	s_waitcnt lgkmcnt(0)
	; wave barrier
	s_and_saveexec_b64 s[0:1], s[12:13]
	s_cbranch_execz .LBB61_2
; %bb.1:
	v_bcnt_u32_b32 v0, v0, 0
	v_bcnt_u32_b32 v0, v1, v0
	ds_write_b32 v12, v0 offset:32
.LBB61_2:
	s_or_b64 exec, exec, s[0:1]
	v_cmp_lt_i32_e32 vcc, -1, v16
	v_cndmask_b32_e32 v0, -1, v14, vcc
	v_xor_b32_e32 v0, v0, v16
	v_cmp_ne_u32_e32 vcc, s8, v0
	v_cndmask_b32_e32 v0, v14, v0, vcc
	v_lshlrev_b32_e32 v0, s10, v0
	v_lshrrev_b32_e32 v0, s9, v0
	v_cndmask_b32_e64 v0, v0, 0, s[4:5]
	v_lshl_add_u32 v1, v0, 3, v0
	v_add_lshl_u32 v15, v15, v1, 2
	v_and_b32_e32 v1, 1, v0
	v_add_co_u32_e32 v5, vcc, -1, v1
	v_addc_co_u32_e64 v16, s[0:1], 0, -1, vcc
	v_cmp_ne_u32_e32 vcc, 0, v1
	v_xor_b32_e32 v5, vcc_lo, v5
	v_xor_b32_e32 v1, vcc_hi, v16
	v_and_b32_e32 v16, exec_lo, v5
	v_lshlrev_b32_e32 v5, 30, v0
	v_cmp_gt_i64_e32 vcc, 0, v[4:5]
	v_not_b32_e32 v5, v5
	v_ashrrev_i32_e32 v5, 31, v5
	v_xor_b32_e32 v17, vcc_hi, v5
	v_xor_b32_e32 v5, vcc_lo, v5
	v_and_b32_e32 v16, v16, v5
	v_lshlrev_b32_e32 v5, 29, v0
	v_cmp_gt_i64_e32 vcc, 0, v[4:5]
	v_not_b32_e32 v5, v5
	v_and_b32_e32 v1, exec_hi, v1
	v_ashrrev_i32_e32 v5, 31, v5
	v_and_b32_e32 v1, v1, v17
	v_xor_b32_e32 v17, vcc_hi, v5
	v_xor_b32_e32 v5, vcc_lo, v5
	v_and_b32_e32 v16, v16, v5
	v_lshlrev_b32_e32 v5, 28, v0
	v_not_b32_e32 v0, v5
	v_cmp_gt_i64_e32 vcc, 0, v[4:5]
	v_ashrrev_i32_e32 v0, 31, v0
	v_xor_b32_e32 v4, vcc_hi, v0
	v_xor_b32_e32 v0, vcc_lo, v0
	; wave barrier
	ds_read_b32 v14, v15 offset:32
	v_and_b32_e32 v1, v1, v17
	v_and_b32_e32 v0, v16, v0
	;; [unrolled: 1-line block ×3, first 2 shown]
	v_mbcnt_lo_u32_b32 v4, v0, 0
	v_mbcnt_hi_u32_b32 v4, v1, v4
	v_cmp_eq_u32_e32 vcc, 0, v4
	v_cmp_ne_u64_e64 s[0:1], 0, v[0:1]
	s_and_b64 s[4:5], s[0:1], vcc
	; wave barrier
	s_and_saveexec_b64 s[0:1], s[4:5]
	s_cbranch_execz .LBB61_4
; %bb.3:
	v_bcnt_u32_b32 v0, v0, 0
	v_bcnt_u32_b32 v0, v1, v0
	s_waitcnt lgkmcnt(0)
	v_add_u32_e32 v0, v14, v0
	ds_write_b32 v15, v0 offset:32
.LBB61_4:
	s_or_b64 exec, exec, s[0:1]
	; wave barrier
	s_waitcnt lgkmcnt(0)
	s_barrier
	ds_read_b32 v0, v10 offset:32
	v_and_b32_e32 v1, 15, v8
	v_cmp_ne_u32_e32 vcc, 0, v1
	s_waitcnt lgkmcnt(0)
	v_mov_b32_dpp v5, v0 row_shr:1 row_mask:0xf bank_mask:0xf
	v_cndmask_b32_e32 v5, 0, v5, vcc
	v_add_u32_e32 v0, v5, v0
	v_cmp_lt_u32_e32 vcc, 1, v1
	s_nop 0
	v_mov_b32_dpp v5, v0 row_shr:2 row_mask:0xf bank_mask:0xf
	v_cndmask_b32_e32 v5, 0, v5, vcc
	v_add_u32_e32 v0, v0, v5
	v_cmp_lt_u32_e32 vcc, 3, v1
	s_nop 0
	;; [unrolled: 5-line block ×3, first 2 shown]
	v_mov_b32_dpp v5, v0 row_shr:8 row_mask:0xf bank_mask:0xf
	v_cndmask_b32_e32 v1, 0, v5, vcc
	v_add_u32_e32 v0, v0, v1
	v_bfe_i32 v5, v8, 4, 1
	v_cmp_lt_u32_e32 vcc, 31, v8
	v_mov_b32_dpp v1, v0 row_bcast:15 row_mask:0xf bank_mask:0xf
	v_and_b32_e32 v1, v5, v1
	v_add_u32_e32 v0, v0, v1
	v_min_u32_e32 v5, 0x1c0, v11
	v_or_b32_e32 v5, 63, v5
	v_mov_b32_dpp v1, v0 row_bcast:31 row_mask:0xf bank_mask:0xf
	v_cndmask_b32_e32 v1, 0, v1, vcc
	v_add_u32_e32 v0, v0, v1
	v_lshrrev_b32_e32 v1, 6, v2
	v_cmp_eq_u32_e32 vcc, v5, v2
	s_and_saveexec_b64 s[0:1], vcc
	s_xor_b64 s[0:1], exec, s[0:1]
	s_cbranch_execz .LBB61_6
; %bb.5:
	v_lshlrev_b32_e32 v5, 2, v1
	ds_write_b32 v5, v0
.LBB61_6:
	s_or_b64 exec, exec, s[0:1]
	v_cmp_gt_u32_e32 vcc, 8, v2
	s_waitcnt lgkmcnt(0)
	s_barrier
	s_and_saveexec_b64 s[0:1], vcc
	s_cbranch_execz .LBB61_8
; %bb.7:
	ds_read_b32 v5, v10
	v_and_b32_e32 v11, 7, v8
	v_cmp_ne_u32_e32 vcc, 0, v11
	s_waitcnt lgkmcnt(0)
	v_mov_b32_dpp v16, v5 row_shr:1 row_mask:0xf bank_mask:0xf
	v_cndmask_b32_e32 v16, 0, v16, vcc
	v_add_u32_e32 v5, v16, v5
	v_cmp_lt_u32_e32 vcc, 1, v11
	s_nop 0
	v_mov_b32_dpp v16, v5 row_shr:2 row_mask:0xf bank_mask:0xf
	v_cndmask_b32_e32 v16, 0, v16, vcc
	v_add_u32_e32 v5, v5, v16
	v_cmp_lt_u32_e32 vcc, 3, v11
	s_nop 0
	v_mov_b32_dpp v16, v5 row_shr:4 row_mask:0xf bank_mask:0xf
	v_cndmask_b32_e32 v11, 0, v16, vcc
	v_add_u32_e32 v5, v5, v11
	ds_write_b32 v10, v5
.LBB61_8:
	s_or_b64 exec, exec, s[0:1]
	v_cmp_lt_u32_e32 vcc, 63, v2
	v_mov_b32_e32 v2, 0
	s_waitcnt lgkmcnt(0)
	s_barrier
	s_and_saveexec_b64 s[0:1], vcc
	s_cbranch_execz .LBB61_10
; %bb.9:
	v_lshl_add_u32 v1, v1, 2, -4
	ds_read_b32 v2, v1
.LBB61_10:
	s_or_b64 exec, exec, s[0:1]
	v_add_u32_e32 v1, -1, v8
	v_and_b32_e32 v5, 64, v8
	v_cmp_lt_i32_e32 vcc, v1, v5
	v_cndmask_b32_e32 v1, v1, v8, vcc
	s_waitcnt lgkmcnt(0)
	v_add_u32_e32 v0, v2, v0
	v_lshlrev_b32_e32 v1, 2, v1
	ds_bpermute_b32 v0, v1, v0
	v_cmp_eq_u32_e32 vcc, 0, v8
	s_add_u32 s0, s2, s6
	s_addc_u32 s1, s3, s7
	s_waitcnt lgkmcnt(0)
	v_cndmask_b32_e32 v0, v0, v2, vcc
	ds_write_b32 v10, v0 offset:32
	s_waitcnt lgkmcnt(0)
	s_barrier
	ds_read_b32 v0, v12 offset:32
	ds_read_b32 v1, v15 offset:32
	s_waitcnt lgkmcnt(0)
	s_barrier
	v_add_u32_e32 v0, v0, v13
	v_add3_u32 v1, v4, v14, v1
	ds_write_b32 v7, v0
	ds_write_b32 v9, v1
	; wave barrier
	ds_read2_b32 v[0:1], v6 offset1:1
	v_lshlrev_b32_e32 v2, 2, v3
	s_waitcnt lgkmcnt(0)
	global_store_dwordx2 v2, v[0:1], s[0:1]
	s_endpgm
	.section	.rodata,"a",@progbits
	.p2align	6, 0x0
	.amdhsa_kernel _Z11rank_kernelILj512ELj2ELj4ELb0EL18RadixRankAlgorithm2EfEvPKT4_Pijj
		.amdhsa_group_segment_fixed_size 4224
		.amdhsa_private_segment_fixed_size 0
		.amdhsa_kernarg_size 280
		.amdhsa_user_sgpr_count 6
		.amdhsa_user_sgpr_private_segment_buffer 1
		.amdhsa_user_sgpr_dispatch_ptr 0
		.amdhsa_user_sgpr_queue_ptr 0
		.amdhsa_user_sgpr_kernarg_segment_ptr 1
		.amdhsa_user_sgpr_dispatch_id 0
		.amdhsa_user_sgpr_flat_scratch_init 0
		.amdhsa_user_sgpr_kernarg_preload_length 0
		.amdhsa_user_sgpr_kernarg_preload_offset 0
		.amdhsa_user_sgpr_private_segment_size 0
		.amdhsa_uses_dynamic_stack 0
		.amdhsa_system_sgpr_private_segment_wavefront_offset 0
		.amdhsa_system_sgpr_workgroup_id_x 1
		.amdhsa_system_sgpr_workgroup_id_y 0
		.amdhsa_system_sgpr_workgroup_id_z 0
		.amdhsa_system_sgpr_workgroup_info 0
		.amdhsa_system_vgpr_workitem_id 2
		.amdhsa_next_free_vgpr 19
		.amdhsa_next_free_sgpr 14
		.amdhsa_accum_offset 20
		.amdhsa_reserve_vcc 1
		.amdhsa_reserve_flat_scratch 0
		.amdhsa_float_round_mode_32 0
		.amdhsa_float_round_mode_16_64 0
		.amdhsa_float_denorm_mode_32 3
		.amdhsa_float_denorm_mode_16_64 3
		.amdhsa_dx10_clamp 1
		.amdhsa_ieee_mode 1
		.amdhsa_fp16_overflow 0
		.amdhsa_tg_split 0
		.amdhsa_exception_fp_ieee_invalid_op 0
		.amdhsa_exception_fp_denorm_src 0
		.amdhsa_exception_fp_ieee_div_zero 0
		.amdhsa_exception_fp_ieee_overflow 0
		.amdhsa_exception_fp_ieee_underflow 0
		.amdhsa_exception_fp_ieee_inexact 0
		.amdhsa_exception_int_div_zero 0
	.end_amdhsa_kernel
	.section	.text._Z11rank_kernelILj512ELj2ELj4ELb0EL18RadixRankAlgorithm2EfEvPKT4_Pijj,"axG",@progbits,_Z11rank_kernelILj512ELj2ELj4ELb0EL18RadixRankAlgorithm2EfEvPKT4_Pijj,comdat
.Lfunc_end61:
	.size	_Z11rank_kernelILj512ELj2ELj4ELb0EL18RadixRankAlgorithm2EfEvPKT4_Pijj, .Lfunc_end61-_Z11rank_kernelILj512ELj2ELj4ELb0EL18RadixRankAlgorithm2EfEvPKT4_Pijj
                                        ; -- End function
	.section	.AMDGPU.csdata,"",@progbits
; Kernel info:
; codeLenInByte = 1360
; NumSgprs: 18
; NumVgprs: 19
; NumAgprs: 0
; TotalNumVgprs: 19
; ScratchSize: 0
; MemoryBound: 0
; FloatMode: 240
; IeeeMode: 1
; LDSByteSize: 4224 bytes/workgroup (compile time only)
; SGPRBlocks: 2
; VGPRBlocks: 2
; NumSGPRsForWavesPerEU: 18
; NumVGPRsForWavesPerEU: 19
; AccumOffset: 20
; Occupancy: 8
; WaveLimiterHint : 0
; COMPUTE_PGM_RSRC2:SCRATCH_EN: 0
; COMPUTE_PGM_RSRC2:USER_SGPR: 6
; COMPUTE_PGM_RSRC2:TRAP_HANDLER: 0
; COMPUTE_PGM_RSRC2:TGID_X_EN: 1
; COMPUTE_PGM_RSRC2:TGID_Y_EN: 0
; COMPUTE_PGM_RSRC2:TGID_Z_EN: 0
; COMPUTE_PGM_RSRC2:TIDIG_COMP_CNT: 2
; COMPUTE_PGM_RSRC3_GFX90A:ACCUM_OFFSET: 4
; COMPUTE_PGM_RSRC3_GFX90A:TG_SPLIT: 0
	.section	.text._Z11rank_kernelILj256ELj7ELj4ELb0EL18RadixRankAlgorithm2EtEvPKT4_Pijj,"axG",@progbits,_Z11rank_kernelILj256ELj7ELj4ELb0EL18RadixRankAlgorithm2EtEvPKT4_Pijj,comdat
	.protected	_Z11rank_kernelILj256ELj7ELj4ELb0EL18RadixRankAlgorithm2EtEvPKT4_Pijj ; -- Begin function _Z11rank_kernelILj256ELj7ELj4ELb0EL18RadixRankAlgorithm2EtEvPKT4_Pijj
	.globl	_Z11rank_kernelILj256ELj7ELj4ELb0EL18RadixRankAlgorithm2EtEvPKT4_Pijj
	.p2align	8
	.type	_Z11rank_kernelILj256ELj7ELj4ELb0EL18RadixRankAlgorithm2EtEvPKT4_Pijj,@function
_Z11rank_kernelILj256ELj7ELj4ELb0EL18RadixRankAlgorithm2EtEvPKT4_Pijj: ; @_Z11rank_kernelILj256ELj7ELj4ELb0EL18RadixRankAlgorithm2EtEvPKT4_Pijj
; %bb.0:
	s_load_dwordx4 s[0:3], s[4:5], 0x0
	s_load_dwordx2 s[8:9], s[4:5], 0x10
	s_mulk_i32 s6, 0x700
	s_mov_b32 s7, 0
	v_and_b32_e32 v2, 0x3ff, v0
	s_lshl_b64 s[10:11], s[6:7], 1
	s_waitcnt lgkmcnt(0)
	s_add_u32 s0, s0, s10
	v_mul_u32_u24_e32 v3, 7, v2
	s_addc_u32 s1, s1, s11
	v_lshlrev_b32_e32 v1, 1, v3
	global_load_dwordx3 v[12:14], v1, s[0:1]
	global_load_ushort v5, v1, s[0:1] offset:12
	s_load_dword s1, s[4:5], 0x24
	v_mbcnt_lo_u32_b32 v1, -1, 0
	s_movk_i32 s0, 0x1c0
	v_mbcnt_hi_u32_b32 v7, -1, v1
	v_lshrrev_b32_e32 v10, 6, v2
	v_bfe_u32 v1, v0, 10, 10
	v_bfe_u32 v0, v0, 20, 10
	v_mad_u32_u24 v8, v10, s0, v7
	s_waitcnt lgkmcnt(0)
	s_lshr_b32 s0, s1, 16
	s_and_b32 s1, s1, 0xffff
	s_and_b32 s9, s9, 31
	v_mad_u32_u24 v0, v0, s0, v1
	v_mul_u32_u24_e32 v6, 0x1c0, v10
	s_cmp_eq_u32 s9, 0
	v_mad_u64_u32 v[0:1], s[0:1], v0, s1, v[2:3]
	v_mad_u32_u24 v6, v7, 7, v6
	s_cselect_b64 s[4:5], -1, 0
	s_and_b32 s0, s8, 31
	v_lshlrev_b32_e32 v11, 1, v8
	v_lshlrev_b32_e32 v15, 1, v6
	s_add_i32 s0, s0, s9
	s_sub_i32 s8, 32, s9
	v_lshrrev_b32_e32 v16, 6, v0
	s_sub_i32 s9, 32, s0
	v_mov_b32_e32 v4, 0
	v_lshlrev_b32_e32 v9, 2, v2
	s_waitcnt vmcnt(1)
	ds_write_b96 v15, v[12:14]
	s_waitcnt vmcnt(0)
	ds_write_b16 v15, v5 offset:12
	; wave barrier
	ds_read_u16 v0, v11
	ds_read_u16 v13, v11 offset:128
	ds_read_u16 v18, v11 offset:256
	;; [unrolled: 1-line block ×6, first 2 shown]
	s_waitcnt lgkmcnt(6)
	v_lshlrev_b32_e32 v0, s9, v0
	v_bfe_u32 v0, v0, s8, 16
	v_cndmask_b32_e64 v0, v0, 0, s[4:5]
	v_mul_u32_u24_e32 v1, 5, v0
	v_and_b32_e32 v12, 1, v0
	v_add_lshl_u32 v11, v16, v1, 2
	v_add_co_u32_e32 v1, vcc, -1, v12
	v_lshlrev_b32_e32 v5, 30, v0
	v_addc_co_u32_e64 v14, s[0:1], 0, -1, vcc
	v_cmp_ne_u32_e32 vcc, 0, v12
	v_cmp_gt_i64_e64 s[0:1], 0, v[4:5]
	v_not_b32_e32 v12, v5
	v_lshlrev_b32_e32 v5, 29, v0
	v_xor_b32_e32 v14, vcc_hi, v14
	v_xor_b32_e32 v1, vcc_lo, v1
	v_ashrrev_i32_e32 v12, 31, v12
	v_cmp_gt_i64_e32 vcc, 0, v[4:5]
	v_not_b32_e32 v15, v5
	v_lshlrev_b32_e32 v5, 28, v0
	v_and_b32_e32 v0, exec_hi, v14
	v_and_b32_e32 v1, exec_lo, v1
	v_xor_b32_e32 v14, s1, v12
	v_xor_b32_e32 v12, s0, v12
	v_ashrrev_i32_e32 v15, 31, v15
	v_cmp_gt_i64_e64 s[0:1], 0, v[4:5]
	v_not_b32_e32 v5, v5
	v_and_b32_e32 v0, v0, v14
	v_and_b32_e32 v1, v1, v12
	v_xor_b32_e32 v12, vcc_hi, v15
	v_xor_b32_e32 v14, vcc_lo, v15
	v_ashrrev_i32_e32 v5, 31, v5
	v_and_b32_e32 v0, v0, v12
	v_and_b32_e32 v12, v1, v14
	v_xor_b32_e32 v1, s1, v5
	v_xor_b32_e32 v5, s0, v5
	v_and_b32_e32 v1, v0, v1
	v_and_b32_e32 v0, v12, v5
	v_mbcnt_lo_u32_b32 v5, v0, 0
	v_mbcnt_hi_u32_b32 v12, v1, v5
	v_cmp_eq_u32_e32 vcc, 0, v12
	v_cmp_ne_u64_e64 s[0:1], 0, v[0:1]
	s_and_b64 s[10:11], s[0:1], vcc
	s_waitcnt lgkmcnt(0)
	s_barrier
	ds_write_b32 v9, v4 offset:16
	s_waitcnt lgkmcnt(0)
	s_barrier
	s_waitcnt lgkmcnt(0)
	; wave barrier
	s_and_saveexec_b64 s[0:1], s[10:11]
	s_cbranch_execz .LBB62_2
; %bb.1:
	v_bcnt_u32_b32 v0, v0, 0
	v_bcnt_u32_b32 v0, v1, v0
	ds_write_b32 v11, v0 offset:16
.LBB62_2:
	s_or_b64 exec, exec, s[0:1]
	v_lshlrev_b32_sdwa v0, s9, v13 dst_sel:DWORD dst_unused:UNUSED_PAD src0_sel:DWORD src1_sel:WORD_0
	v_bfe_u32 v0, v0, s8, 16
	v_cndmask_b32_e64 v0, v0, 0, s[4:5]
	v_mul_u32_u24_e32 v1, 5, v0
	v_add_lshl_u32 v14, v16, v1, 2
	v_and_b32_e32 v1, 1, v0
	v_add_co_u32_e32 v5, vcc, -1, v1
	v_addc_co_u32_e64 v15, s[0:1], 0, -1, vcc
	v_cmp_ne_u32_e32 vcc, 0, v1
	v_xor_b32_e32 v5, vcc_lo, v5
	v_xor_b32_e32 v1, vcc_hi, v15
	v_and_b32_e32 v15, exec_lo, v5
	v_lshlrev_b32_e32 v5, 30, v0
	v_cmp_gt_i64_e32 vcc, 0, v[4:5]
	v_not_b32_e32 v5, v5
	v_ashrrev_i32_e32 v5, 31, v5
	v_xor_b32_e32 v19, vcc_hi, v5
	v_xor_b32_e32 v5, vcc_lo, v5
	v_and_b32_e32 v15, v15, v5
	v_lshlrev_b32_e32 v5, 29, v0
	v_cmp_gt_i64_e32 vcc, 0, v[4:5]
	v_not_b32_e32 v5, v5
	v_and_b32_e32 v1, exec_hi, v1
	v_ashrrev_i32_e32 v5, 31, v5
	v_and_b32_e32 v1, v1, v19
	v_xor_b32_e32 v19, vcc_hi, v5
	v_xor_b32_e32 v5, vcc_lo, v5
	v_and_b32_e32 v15, v15, v5
	v_lshlrev_b32_e32 v5, 28, v0
	v_not_b32_e32 v0, v5
	v_cmp_gt_i64_e32 vcc, 0, v[4:5]
	v_ashrrev_i32_e32 v0, 31, v0
	v_xor_b32_e32 v4, vcc_hi, v0
	v_xor_b32_e32 v0, vcc_lo, v0
	; wave barrier
	ds_read_b32 v13, v14 offset:16
	v_and_b32_e32 v1, v1, v19
	v_and_b32_e32 v0, v15, v0
	;; [unrolled: 1-line block ×3, first 2 shown]
	v_mbcnt_lo_u32_b32 v4, v0, 0
	v_mbcnt_hi_u32_b32 v15, v1, v4
	v_cmp_eq_u32_e32 vcc, 0, v15
	v_cmp_ne_u64_e64 s[0:1], 0, v[0:1]
	s_and_b64 s[10:11], s[0:1], vcc
	; wave barrier
	s_and_saveexec_b64 s[0:1], s[10:11]
	s_cbranch_execz .LBB62_4
; %bb.3:
	v_bcnt_u32_b32 v0, v0, 0
	v_bcnt_u32_b32 v0, v1, v0
	s_waitcnt lgkmcnt(0)
	v_add_u32_e32 v0, v13, v0
	ds_write_b32 v14, v0 offset:16
.LBB62_4:
	s_or_b64 exec, exec, s[0:1]
	v_lshlrev_b32_sdwa v0, s9, v18 dst_sel:DWORD dst_unused:UNUSED_PAD src0_sel:DWORD src1_sel:WORD_0
	v_bfe_u32 v1, v0, s8, 16
	v_cndmask_b32_e64 v4, v1, 0, s[4:5]
	v_mul_u32_u24_e32 v1, 5, v4
	v_add_lshl_u32 v19, v16, v1, 2
	v_and_b32_e32 v1, 1, v4
	v_add_co_u32_e32 v5, vcc, -1, v1
	v_addc_co_u32_e64 v20, s[0:1], 0, -1, vcc
	v_cmp_ne_u32_e32 vcc, 0, v1
	v_xor_b32_e32 v1, vcc_hi, v20
	v_mov_b32_e32 v0, 0
	v_and_b32_e32 v20, exec_hi, v1
	v_lshlrev_b32_e32 v1, 30, v4
	v_xor_b32_e32 v5, vcc_lo, v5
	v_cmp_gt_i64_e32 vcc, 0, v[0:1]
	v_not_b32_e32 v1, v1
	v_ashrrev_i32_e32 v1, 31, v1
	v_and_b32_e32 v5, exec_lo, v5
	v_xor_b32_e32 v23, vcc_hi, v1
	v_xor_b32_e32 v1, vcc_lo, v1
	v_and_b32_e32 v5, v5, v1
	v_lshlrev_b32_e32 v1, 29, v4
	v_cmp_gt_i64_e32 vcc, 0, v[0:1]
	v_not_b32_e32 v1, v1
	v_ashrrev_i32_e32 v1, 31, v1
	v_and_b32_e32 v20, v20, v23
	v_xor_b32_e32 v23, vcc_hi, v1
	v_xor_b32_e32 v1, vcc_lo, v1
	v_and_b32_e32 v20, v20, v23
	v_and_b32_e32 v23, v5, v1
	v_lshlrev_b32_e32 v1, 28, v4
	v_cmp_gt_i64_e32 vcc, 0, v[0:1]
	v_not_b32_e32 v1, v1
	v_ashrrev_i32_e32 v1, 31, v1
	v_xor_b32_e32 v4, vcc_hi, v1
	v_xor_b32_e32 v1, vcc_lo, v1
	; wave barrier
	ds_read_b32 v18, v19 offset:16
	v_and_b32_e32 v5, v20, v4
	v_and_b32_e32 v4, v23, v1
	v_mbcnt_lo_u32_b32 v1, v4, 0
	v_mbcnt_hi_u32_b32 v20, v5, v1
	v_cmp_eq_u32_e32 vcc, 0, v20
	v_cmp_ne_u64_e64 s[0:1], 0, v[4:5]
	s_and_b64 s[10:11], s[0:1], vcc
	; wave barrier
	s_and_saveexec_b64 s[0:1], s[10:11]
	s_cbranch_execz .LBB62_6
; %bb.5:
	v_bcnt_u32_b32 v1, v4, 0
	v_bcnt_u32_b32 v1, v5, v1
	s_waitcnt lgkmcnt(0)
	v_add_u32_e32 v1, v18, v1
	ds_write_b32 v19, v1 offset:16
.LBB62_6:
	s_or_b64 exec, exec, s[0:1]
	v_lshlrev_b32_sdwa v1, s9, v22 dst_sel:DWORD dst_unused:UNUSED_PAD src0_sel:DWORD src1_sel:WORD_0
	v_bfe_u32 v1, v1, s8, 16
	v_cndmask_b32_e64 v4, v1, 0, s[4:5]
	v_mul_u32_u24_e32 v1, 5, v4
	v_add_lshl_u32 v23, v16, v1, 2
	v_and_b32_e32 v1, 1, v4
	v_add_co_u32_e32 v5, vcc, -1, v1
	v_addc_co_u32_e64 v24, s[0:1], 0, -1, vcc
	v_cmp_ne_u32_e32 vcc, 0, v1
	v_xor_b32_e32 v1, vcc_hi, v24
	v_and_b32_e32 v24, exec_hi, v1
	v_lshlrev_b32_e32 v1, 30, v4
	v_xor_b32_e32 v5, vcc_lo, v5
	v_cmp_gt_i64_e32 vcc, 0, v[0:1]
	v_not_b32_e32 v1, v1
	v_ashrrev_i32_e32 v1, 31, v1
	v_and_b32_e32 v5, exec_lo, v5
	v_xor_b32_e32 v26, vcc_hi, v1
	v_xor_b32_e32 v1, vcc_lo, v1
	v_and_b32_e32 v5, v5, v1
	v_lshlrev_b32_e32 v1, 29, v4
	v_cmp_gt_i64_e32 vcc, 0, v[0:1]
	v_not_b32_e32 v1, v1
	v_ashrrev_i32_e32 v1, 31, v1
	v_and_b32_e32 v24, v24, v26
	v_xor_b32_e32 v26, vcc_hi, v1
	v_xor_b32_e32 v1, vcc_lo, v1
	v_and_b32_e32 v5, v5, v1
	v_lshlrev_b32_e32 v1, 28, v4
	v_cmp_gt_i64_e32 vcc, 0, v[0:1]
	v_not_b32_e32 v0, v1
	v_ashrrev_i32_e32 v0, 31, v0
	v_xor_b32_e32 v1, vcc_hi, v0
	v_xor_b32_e32 v0, vcc_lo, v0
	; wave barrier
	ds_read_b32 v22, v23 offset:16
	v_and_b32_e32 v24, v24, v26
	v_and_b32_e32 v0, v5, v0
	;; [unrolled: 1-line block ×3, first 2 shown]
	v_mbcnt_lo_u32_b32 v4, v0, 0
	v_mbcnt_hi_u32_b32 v24, v1, v4
	v_cmp_eq_u32_e32 vcc, 0, v24
	v_cmp_ne_u64_e64 s[0:1], 0, v[0:1]
	s_and_b64 s[10:11], s[0:1], vcc
	; wave barrier
	s_and_saveexec_b64 s[0:1], s[10:11]
	s_cbranch_execz .LBB62_8
; %bb.7:
	v_bcnt_u32_b32 v0, v0, 0
	v_bcnt_u32_b32 v0, v1, v0
	s_waitcnt lgkmcnt(0)
	v_add_u32_e32 v0, v22, v0
	ds_write_b32 v23, v0 offset:16
.LBB62_8:
	s_or_b64 exec, exec, s[0:1]
	v_lshlrev_b32_sdwa v0, s9, v25 dst_sel:DWORD dst_unused:UNUSED_PAD src0_sel:DWORD src1_sel:WORD_0
	v_bfe_u32 v1, v0, s8, 16
	v_cndmask_b32_e64 v4, v1, 0, s[4:5]
	v_mul_u32_u24_e32 v1, 5, v4
	v_add_lshl_u32 v26, v16, v1, 2
	v_and_b32_e32 v1, 1, v4
	v_add_co_u32_e32 v5, vcc, -1, v1
	v_addc_co_u32_e64 v27, s[0:1], 0, -1, vcc
	v_cmp_ne_u32_e32 vcc, 0, v1
	v_xor_b32_e32 v1, vcc_hi, v27
	v_mov_b32_e32 v0, 0
	v_and_b32_e32 v27, exec_hi, v1
	v_lshlrev_b32_e32 v1, 30, v4
	v_xor_b32_e32 v5, vcc_lo, v5
	v_cmp_gt_i64_e32 vcc, 0, v[0:1]
	v_not_b32_e32 v1, v1
	v_ashrrev_i32_e32 v1, 31, v1
	v_and_b32_e32 v5, exec_lo, v5
	v_xor_b32_e32 v28, vcc_hi, v1
	v_xor_b32_e32 v1, vcc_lo, v1
	v_and_b32_e32 v5, v5, v1
	v_lshlrev_b32_e32 v1, 29, v4
	v_cmp_gt_i64_e32 vcc, 0, v[0:1]
	v_not_b32_e32 v1, v1
	v_ashrrev_i32_e32 v1, 31, v1
	v_and_b32_e32 v27, v27, v28
	v_xor_b32_e32 v28, vcc_hi, v1
	v_xor_b32_e32 v1, vcc_lo, v1
	v_and_b32_e32 v27, v27, v28
	v_and_b32_e32 v28, v5, v1
	v_lshlrev_b32_e32 v1, 28, v4
	v_cmp_gt_i64_e32 vcc, 0, v[0:1]
	v_not_b32_e32 v1, v1
	v_ashrrev_i32_e32 v1, 31, v1
	v_xor_b32_e32 v4, vcc_hi, v1
	v_xor_b32_e32 v1, vcc_lo, v1
	; wave barrier
	ds_read_b32 v25, v26 offset:16
	v_and_b32_e32 v5, v27, v4
	v_and_b32_e32 v4, v28, v1
	v_mbcnt_lo_u32_b32 v1, v4, 0
	v_mbcnt_hi_u32_b32 v27, v5, v1
	v_cmp_eq_u32_e32 vcc, 0, v27
	v_cmp_ne_u64_e64 s[0:1], 0, v[4:5]
	s_and_b64 s[10:11], s[0:1], vcc
	; wave barrier
	s_and_saveexec_b64 s[0:1], s[10:11]
	s_cbranch_execz .LBB62_10
; %bb.9:
	v_bcnt_u32_b32 v1, v4, 0
	v_bcnt_u32_b32 v1, v5, v1
	s_waitcnt lgkmcnt(0)
	v_add_u32_e32 v1, v25, v1
	ds_write_b32 v26, v1 offset:16
.LBB62_10:
	s_or_b64 exec, exec, s[0:1]
	v_lshlrev_b32_sdwa v1, s9, v21 dst_sel:DWORD dst_unused:UNUSED_PAD src0_sel:DWORD src1_sel:WORD_0
	v_bfe_u32 v1, v1, s8, 16
	v_cndmask_b32_e64 v21, v1, 0, s[4:5]
	v_mul_u32_u24_e32 v1, 5, v21
	v_add_lshl_u32 v5, v16, v1, 2
	v_and_b32_e32 v1, 1, v21
	v_add_co_u32_e32 v28, vcc, -1, v1
	v_addc_co_u32_e64 v29, s[0:1], 0, -1, vcc
	v_cmp_ne_u32_e32 vcc, 0, v1
	v_xor_b32_e32 v1, vcc_hi, v29
	v_and_b32_e32 v29, exec_hi, v1
	v_lshlrev_b32_e32 v1, 30, v21
	v_xor_b32_e32 v28, vcc_lo, v28
	v_cmp_gt_i64_e32 vcc, 0, v[0:1]
	v_not_b32_e32 v1, v1
	v_ashrrev_i32_e32 v1, 31, v1
	v_and_b32_e32 v28, exec_lo, v28
	v_xor_b32_e32 v30, vcc_hi, v1
	v_xor_b32_e32 v1, vcc_lo, v1
	v_and_b32_e32 v28, v28, v1
	v_lshlrev_b32_e32 v1, 29, v21
	v_cmp_gt_i64_e32 vcc, 0, v[0:1]
	v_not_b32_e32 v1, v1
	v_ashrrev_i32_e32 v1, 31, v1
	v_and_b32_e32 v29, v29, v30
	v_xor_b32_e32 v30, vcc_hi, v1
	v_xor_b32_e32 v1, vcc_lo, v1
	v_and_b32_e32 v28, v28, v1
	v_lshlrev_b32_e32 v1, 28, v21
	v_cmp_gt_i64_e32 vcc, 0, v[0:1]
	v_not_b32_e32 v0, v1
	v_ashrrev_i32_e32 v0, 31, v0
	v_xor_b32_e32 v1, vcc_hi, v0
	v_xor_b32_e32 v0, vcc_lo, v0
	; wave barrier
	ds_read_b32 v4, v5 offset:16
	v_and_b32_e32 v29, v29, v30
	v_and_b32_e32 v0, v28, v0
	;; [unrolled: 1-line block ×3, first 2 shown]
	v_mbcnt_lo_u32_b32 v21, v0, 0
	v_mbcnt_hi_u32_b32 v21, v1, v21
	v_cmp_eq_u32_e32 vcc, 0, v21
	v_cmp_ne_u64_e64 s[0:1], 0, v[0:1]
	s_and_b64 s[10:11], s[0:1], vcc
	; wave barrier
	s_and_saveexec_b64 s[0:1], s[10:11]
	s_cbranch_execz .LBB62_12
; %bb.11:
	v_bcnt_u32_b32 v0, v0, 0
	v_bcnt_u32_b32 v0, v1, v0
	s_waitcnt lgkmcnt(0)
	v_add_u32_e32 v0, v4, v0
	ds_write_b32 v5, v0 offset:16
.LBB62_12:
	s_or_b64 exec, exec, s[0:1]
	v_lshlrev_b32_sdwa v0, s9, v17 dst_sel:DWORD dst_unused:UNUSED_PAD src0_sel:DWORD src1_sel:WORD_0
	v_bfe_u32 v1, v0, s8, 16
	v_cndmask_b32_e64 v28, v1, 0, s[4:5]
	v_mul_u32_u24_e32 v1, 5, v28
	v_add_lshl_u32 v17, v16, v1, 2
	v_and_b32_e32 v1, 1, v28
	v_add_co_u32_e32 v29, vcc, -1, v1
	v_addc_co_u32_e64 v30, s[0:1], 0, -1, vcc
	v_cmp_ne_u32_e32 vcc, 0, v1
	v_xor_b32_e32 v1, vcc_hi, v30
	v_mov_b32_e32 v0, 0
	v_and_b32_e32 v30, exec_hi, v1
	v_lshlrev_b32_e32 v1, 30, v28
	v_xor_b32_e32 v29, vcc_lo, v29
	v_cmp_gt_i64_e32 vcc, 0, v[0:1]
	v_not_b32_e32 v1, v1
	v_ashrrev_i32_e32 v1, 31, v1
	v_and_b32_e32 v29, exec_lo, v29
	v_xor_b32_e32 v31, vcc_hi, v1
	v_xor_b32_e32 v1, vcc_lo, v1
	v_and_b32_e32 v29, v29, v1
	v_lshlrev_b32_e32 v1, 29, v28
	v_cmp_gt_i64_e32 vcc, 0, v[0:1]
	v_not_b32_e32 v1, v1
	v_ashrrev_i32_e32 v1, 31, v1
	v_and_b32_e32 v30, v30, v31
	v_xor_b32_e32 v31, vcc_hi, v1
	v_xor_b32_e32 v1, vcc_lo, v1
	v_and_b32_e32 v29, v29, v1
	v_lshlrev_b32_e32 v1, 28, v28
	v_cmp_gt_i64_e32 vcc, 0, v[0:1]
	v_not_b32_e32 v0, v1
	v_ashrrev_i32_e32 v0, 31, v0
	v_xor_b32_e32 v1, vcc_hi, v0
	v_xor_b32_e32 v0, vcc_lo, v0
	; wave barrier
	ds_read_b32 v16, v17 offset:16
	v_and_b32_e32 v30, v30, v31
	v_and_b32_e32 v0, v29, v0
	;; [unrolled: 1-line block ×3, first 2 shown]
	v_mbcnt_lo_u32_b32 v28, v0, 0
	v_mbcnt_hi_u32_b32 v28, v1, v28
	v_cmp_eq_u32_e32 vcc, 0, v28
	v_cmp_ne_u64_e64 s[0:1], 0, v[0:1]
	s_and_b64 s[4:5], s[0:1], vcc
	; wave barrier
	s_and_saveexec_b64 s[0:1], s[4:5]
	s_cbranch_execz .LBB62_14
; %bb.13:
	v_bcnt_u32_b32 v0, v0, 0
	v_bcnt_u32_b32 v0, v1, v0
	s_waitcnt lgkmcnt(0)
	v_add_u32_e32 v0, v16, v0
	ds_write_b32 v17, v0 offset:16
.LBB62_14:
	s_or_b64 exec, exec, s[0:1]
	; wave barrier
	s_waitcnt lgkmcnt(0)
	s_barrier
	ds_read_b32 v0, v9 offset:16
	v_and_b32_e32 v1, 15, v7
	v_cmp_ne_u32_e32 vcc, 0, v1
	s_waitcnt lgkmcnt(0)
	v_mov_b32_dpp v29, v0 row_shr:1 row_mask:0xf bank_mask:0xf
	v_cndmask_b32_e32 v29, 0, v29, vcc
	v_add_u32_e32 v0, v29, v0
	v_cmp_lt_u32_e32 vcc, 1, v1
	s_nop 0
	v_mov_b32_dpp v29, v0 row_shr:2 row_mask:0xf bank_mask:0xf
	v_cndmask_b32_e32 v29, 0, v29, vcc
	v_add_u32_e32 v0, v0, v29
	v_cmp_lt_u32_e32 vcc, 3, v1
	s_nop 0
	;; [unrolled: 5-line block ×3, first 2 shown]
	v_mov_b32_dpp v29, v0 row_shr:8 row_mask:0xf bank_mask:0xf
	v_cndmask_b32_e32 v1, 0, v29, vcc
	v_add_u32_e32 v0, v0, v1
	v_bfe_i32 v29, v7, 4, 1
	v_cmp_lt_u32_e32 vcc, 31, v7
	v_mov_b32_dpp v1, v0 row_bcast:15 row_mask:0xf bank_mask:0xf
	v_and_b32_e32 v1, v29, v1
	v_add_u32_e32 v0, v0, v1
	s_nop 1
	v_mov_b32_dpp v1, v0 row_bcast:31 row_mask:0xf bank_mask:0xf
	v_cndmask_b32_e32 v1, 0, v1, vcc
	v_add_u32_e32 v0, v0, v1
	v_and_b32_e32 v1, 0x3c0, v2
	v_min_u32_e32 v1, 0xc0, v1
	v_or_b32_e32 v1, 63, v1
	v_cmp_eq_u32_e32 vcc, v1, v2
	s_and_saveexec_b64 s[0:1], vcc
	s_xor_b64 s[0:1], exec, s[0:1]
	s_cbranch_execz .LBB62_16
; %bb.15:
	v_lshlrev_b32_e32 v1, 2, v10
	ds_write_b32 v1, v0
.LBB62_16:
	s_or_b64 exec, exec, s[0:1]
	v_cmp_gt_u32_e32 vcc, 4, v2
	s_waitcnt lgkmcnt(0)
	s_barrier
	s_and_saveexec_b64 s[0:1], vcc
	s_cbranch_execz .LBB62_18
; %bb.17:
	ds_read_b32 v1, v9
	v_and_b32_e32 v29, 3, v7
	v_cmp_ne_u32_e32 vcc, 0, v29
	s_waitcnt lgkmcnt(0)
	v_mov_b32_dpp v30, v1 row_shr:1 row_mask:0xf bank_mask:0xf
	v_cndmask_b32_e32 v30, 0, v30, vcc
	v_add_u32_e32 v1, v30, v1
	v_cmp_lt_u32_e32 vcc, 1, v29
	s_nop 0
	v_mov_b32_dpp v30, v1 row_shr:2 row_mask:0xf bank_mask:0xf
	v_cndmask_b32_e32 v29, 0, v30, vcc
	v_add_u32_e32 v1, v1, v29
	ds_write_b32 v9, v1
.LBB62_18:
	s_or_b64 exec, exec, s[0:1]
	v_cmp_lt_u32_e32 vcc, 63, v2
	v_mov_b32_e32 v1, 0
	s_waitcnt lgkmcnt(0)
	s_barrier
	s_and_saveexec_b64 s[0:1], vcc
	s_cbranch_execz .LBB62_20
; %bb.19:
	v_lshl_add_u32 v1, v10, 2, -4
	ds_read_b32 v1, v1
.LBB62_20:
	s_or_b64 exec, exec, s[0:1]
	v_add_u32_e32 v2, -1, v7
	v_and_b32_e32 v10, 64, v7
	v_cmp_lt_i32_e32 vcc, v2, v10
	v_cndmask_b32_e32 v2, v2, v7, vcc
	s_waitcnt lgkmcnt(0)
	v_add_u32_e32 v0, v1, v0
	v_lshlrev_b32_e32 v2, 2, v2
	ds_bpermute_b32 v0, v2, v0
	v_cmp_eq_u32_e32 vcc, 0, v7
	v_lshlrev_b32_e32 v8, 2, v8
	s_lshl_b64 s[0:1], s[6:7], 2
	s_add_u32 s0, s2, s0
	s_waitcnt lgkmcnt(0)
	v_cndmask_b32_e32 v0, v0, v1, vcc
	ds_write_b32 v9, v0 offset:16
	s_waitcnt lgkmcnt(0)
	s_barrier
	ds_read_b32 v0, v11 offset:16
	ds_read_b32 v1, v14 offset:16
	;; [unrolled: 1-line block ×7, first 2 shown]
	s_waitcnt lgkmcnt(6)
	v_add_u32_e32 v0, v0, v12
	s_waitcnt lgkmcnt(5)
	v_add3_u32 v1, v15, v13, v1
	s_waitcnt lgkmcnt(4)
	v_add3_u32 v2, v20, v18, v2
	;; [unrolled: 2-line block ×6, first 2 shown]
	s_barrier
	ds_write2st64_b32 v8, v0, v1 offset1:1
	ds_write2st64_b32 v8, v2, v7 offset0:2 offset1:3
	ds_write2st64_b32 v8, v9, v4 offset0:4 offset1:5
	ds_write_b32 v8, v5 offset:1536
	v_lshlrev_b32_e32 v2, 2, v6
	; wave barrier
	ds_read2_b32 v[4:5], v2 offset1:1
	ds_read2_b32 v[6:7], v2 offset0:2 offset1:3
	ds_read2_b32 v[0:1], v2 offset0:4 offset1:5
	ds_read_b32 v2, v2 offset:24
	s_addc_u32 s1, s3, s1
	v_lshlrev_b32_e32 v3, 2, v3
	s_waitcnt lgkmcnt(2)
	global_store_dwordx4 v3, v[4:7], s[0:1]
	s_waitcnt lgkmcnt(0)
	global_store_dwordx3 v3, v[0:2], s[0:1] offset:16
	s_endpgm
	.section	.rodata,"a",@progbits
	.p2align	6, 0x0
	.amdhsa_kernel _Z11rank_kernelILj256ELj7ELj4ELb0EL18RadixRankAlgorithm2EtEvPKT4_Pijj
		.amdhsa_group_segment_fixed_size 7168
		.amdhsa_private_segment_fixed_size 0
		.amdhsa_kernarg_size 280
		.amdhsa_user_sgpr_count 6
		.amdhsa_user_sgpr_private_segment_buffer 1
		.amdhsa_user_sgpr_dispatch_ptr 0
		.amdhsa_user_sgpr_queue_ptr 0
		.amdhsa_user_sgpr_kernarg_segment_ptr 1
		.amdhsa_user_sgpr_dispatch_id 0
		.amdhsa_user_sgpr_flat_scratch_init 0
		.amdhsa_user_sgpr_kernarg_preload_length 0
		.amdhsa_user_sgpr_kernarg_preload_offset 0
		.amdhsa_user_sgpr_private_segment_size 0
		.amdhsa_uses_dynamic_stack 0
		.amdhsa_system_sgpr_private_segment_wavefront_offset 0
		.amdhsa_system_sgpr_workgroup_id_x 1
		.amdhsa_system_sgpr_workgroup_id_y 0
		.amdhsa_system_sgpr_workgroup_id_z 0
		.amdhsa_system_sgpr_workgroup_info 0
		.amdhsa_system_vgpr_workitem_id 2
		.amdhsa_next_free_vgpr 32
		.amdhsa_next_free_sgpr 12
		.amdhsa_accum_offset 32
		.amdhsa_reserve_vcc 1
		.amdhsa_reserve_flat_scratch 0
		.amdhsa_float_round_mode_32 0
		.amdhsa_float_round_mode_16_64 0
		.amdhsa_float_denorm_mode_32 3
		.amdhsa_float_denorm_mode_16_64 3
		.amdhsa_dx10_clamp 1
		.amdhsa_ieee_mode 1
		.amdhsa_fp16_overflow 0
		.amdhsa_tg_split 0
		.amdhsa_exception_fp_ieee_invalid_op 0
		.amdhsa_exception_fp_denorm_src 0
		.amdhsa_exception_fp_ieee_div_zero 0
		.amdhsa_exception_fp_ieee_overflow 0
		.amdhsa_exception_fp_ieee_underflow 0
		.amdhsa_exception_fp_ieee_inexact 0
		.amdhsa_exception_int_div_zero 0
	.end_amdhsa_kernel
	.section	.text._Z11rank_kernelILj256ELj7ELj4ELb0EL18RadixRankAlgorithm2EtEvPKT4_Pijj,"axG",@progbits,_Z11rank_kernelILj256ELj7ELj4ELb0EL18RadixRankAlgorithm2EtEvPKT4_Pijj,comdat
.Lfunc_end62:
	.size	_Z11rank_kernelILj256ELj7ELj4ELb0EL18RadixRankAlgorithm2EtEvPKT4_Pijj, .Lfunc_end62-_Z11rank_kernelILj256ELj7ELj4ELb0EL18RadixRankAlgorithm2EtEvPKT4_Pijj
                                        ; -- End function
	.section	.AMDGPU.csdata,"",@progbits
; Kernel info:
; codeLenInByte = 2772
; NumSgprs: 16
; NumVgprs: 32
; NumAgprs: 0
; TotalNumVgprs: 32
; ScratchSize: 0
; MemoryBound: 0
; FloatMode: 240
; IeeeMode: 1
; LDSByteSize: 7168 bytes/workgroup (compile time only)
; SGPRBlocks: 1
; VGPRBlocks: 3
; NumSGPRsForWavesPerEU: 16
; NumVGPRsForWavesPerEU: 32
; AccumOffset: 32
; Occupancy: 8
; WaveLimiterHint : 0
; COMPUTE_PGM_RSRC2:SCRATCH_EN: 0
; COMPUTE_PGM_RSRC2:USER_SGPR: 6
; COMPUTE_PGM_RSRC2:TRAP_HANDLER: 0
; COMPUTE_PGM_RSRC2:TGID_X_EN: 1
; COMPUTE_PGM_RSRC2:TGID_Y_EN: 0
; COMPUTE_PGM_RSRC2:TGID_Z_EN: 0
; COMPUTE_PGM_RSRC2:TIDIG_COMP_CNT: 2
; COMPUTE_PGM_RSRC3_GFX90A:ACCUM_OFFSET: 7
; COMPUTE_PGM_RSRC3_GFX90A:TG_SPLIT: 0
	.section	.text._Z11rank_kernelILj128ELj4ELj4ELb0EL18RadixRankAlgorithm2EiEvPKT4_Pijj,"axG",@progbits,_Z11rank_kernelILj128ELj4ELj4ELb0EL18RadixRankAlgorithm2EiEvPKT4_Pijj,comdat
	.protected	_Z11rank_kernelILj128ELj4ELj4ELb0EL18RadixRankAlgorithm2EiEvPKT4_Pijj ; -- Begin function _Z11rank_kernelILj128ELj4ELj4ELb0EL18RadixRankAlgorithm2EiEvPKT4_Pijj
	.globl	_Z11rank_kernelILj128ELj4ELj4ELb0EL18RadixRankAlgorithm2EiEvPKT4_Pijj
	.p2align	8
	.type	_Z11rank_kernelILj128ELj4ELj4ELb0EL18RadixRankAlgorithm2EiEvPKT4_Pijj,@function
_Z11rank_kernelILj128ELj4ELj4ELb0EL18RadixRankAlgorithm2EiEvPKT4_Pijj: ; @_Z11rank_kernelILj128ELj4ELj4ELb0EL18RadixRankAlgorithm2EiEvPKT4_Pijj
; %bb.0:
	s_load_dwordx4 s[0:3], s[4:5], 0x0
	s_load_dwordx2 s[8:9], s[4:5], 0x10
	s_lshl_b32 s6, s6, 9
	s_mov_b32 s7, 0
	s_lshl_b64 s[6:7], s[6:7], 2
	v_and_b32_e32 v2, 0x3ff, v0
	s_waitcnt lgkmcnt(0)
	s_add_u32 s0, s0, s6
	s_addc_u32 s1, s1, s7
	v_lshlrev_b32_e32 v1, 4, v2
	global_load_dwordx4 v[14:17], v1, s[0:1]
	s_load_dword s1, s[4:5], 0x24
	v_mbcnt_lo_u32_b32 v1, -1, 0
	s_movk_i32 s0, 0x100
	v_mbcnt_hi_u32_b32 v6, -1, v1
	v_lshlrev_b32_e32 v3, 2, v2
	v_and_b32_e32 v12, 64, v2
	v_bfe_u32 v1, v0, 10, 10
	v_bfe_u32 v0, v0, 20, 10
	v_add_u32_e32 v5, v6, v12
	v_and_or_b32 v8, v3, s0, v6
	s_waitcnt lgkmcnt(0)
	s_lshr_b32 s0, s1, 16
	v_lshlrev_b32_e32 v7, 2, v5
	v_bfe_u32 v5, v5, 3, 27
	v_lshrrev_b32_e32 v9, 5, v8
	v_add_u32_e32 v10, 64, v8
	v_or_b32_e32 v11, 0x80, v8
	v_add_u32_e32 v13, 0xc0, v8
	s_and_b32 s1, s1, 0xffff
	s_and_b32 s9, s9, 31
	v_mad_u32_u24 v0, v0, s0, v1
	v_add_lshl_u32 v7, v5, v7, 2
	v_add_lshl_u32 v8, v9, v8, 2
	v_lshrrev_b32_e32 v5, 5, v10
	v_lshrrev_b32_e32 v18, 5, v11
	;; [unrolled: 1-line block ×3, first 2 shown]
	s_cmp_eq_u32 s9, 0
	v_mad_u64_u32 v[0:1], s[0:1], v0, s1, v[2:3]
	v_add_lshl_u32 v9, v5, v10, 2
	v_add_lshl_u32 v10, v18, v11, 2
	;; [unrolled: 1-line block ×3, first 2 shown]
	s_cselect_b64 s[4:5], -1, 0
	s_and_b32 s0, s8, 31
	v_lshrrev_b32_e32 v18, 6, v0
	s_add_i32 s0, s0, s9
	s_sub_i32 s8, 32, s9
	s_sub_i32 s9, 32, s0
	v_mov_b32_e32 v4, 0
	s_waitcnt vmcnt(0)
	ds_write2_b32 v7, v14, v15 offset1:1
	ds_write2_b32 v7, v16, v17 offset0:2 offset1:3
	; wave barrier
	ds_read_b32 v0, v8
	ds_read_b32 v15, v9
	ds_read_b32 v19, v10
	ds_read_b32 v20, v11
	s_waitcnt lgkmcnt(0)
	v_xor_b32_e32 v0, 0x80000000, v0
	v_lshlrev_b32_e32 v0, s9, v0
	v_lshrrev_b32_e32 v0, s8, v0
	v_cndmask_b32_e64 v0, v0, 0, s[4:5]
	v_lshl_add_u32 v1, v0, 1, v0
	v_and_b32_e32 v14, 1, v0
	v_add_lshl_u32 v13, v18, v1, 2
	v_add_co_u32_e32 v1, vcc, -1, v14
	v_lshlrev_b32_e32 v5, 30, v0
	v_addc_co_u32_e64 v16, s[0:1], 0, -1, vcc
	v_cmp_ne_u32_e32 vcc, 0, v14
	v_cmp_gt_i64_e64 s[0:1], 0, v[4:5]
	v_not_b32_e32 v14, v5
	v_lshlrev_b32_e32 v5, 29, v0
	v_xor_b32_e32 v16, vcc_hi, v16
	v_xor_b32_e32 v1, vcc_lo, v1
	v_ashrrev_i32_e32 v14, 31, v14
	v_cmp_gt_i64_e32 vcc, 0, v[4:5]
	v_not_b32_e32 v17, v5
	v_lshlrev_b32_e32 v5, 28, v0
	v_and_b32_e32 v0, exec_hi, v16
	v_and_b32_e32 v1, exec_lo, v1
	v_xor_b32_e32 v16, s1, v14
	v_xor_b32_e32 v14, s0, v14
	v_ashrrev_i32_e32 v17, 31, v17
	v_cmp_gt_i64_e64 s[0:1], 0, v[4:5]
	v_not_b32_e32 v5, v5
	v_and_b32_e32 v0, v0, v16
	v_and_b32_e32 v1, v1, v14
	v_xor_b32_e32 v14, vcc_hi, v17
	v_xor_b32_e32 v16, vcc_lo, v17
	v_ashrrev_i32_e32 v5, 31, v5
	v_and_b32_e32 v0, v0, v14
	v_and_b32_e32 v14, v1, v16
	v_xor_b32_e32 v1, s1, v5
	v_xor_b32_e32 v5, s0, v5
	v_and_b32_e32 v1, v0, v1
	v_and_b32_e32 v0, v14, v5
	v_mbcnt_lo_u32_b32 v5, v0, 0
	v_mbcnt_hi_u32_b32 v14, v1, v5
	v_cmp_eq_u32_e32 vcc, 0, v14
	v_cmp_ne_u64_e64 s[0:1], 0, v[0:1]
	s_and_b64 s[10:11], s[0:1], vcc
	s_barrier
	ds_write_b32 v3, v4 offset:8
	s_waitcnt lgkmcnt(0)
	s_barrier
	s_waitcnt lgkmcnt(0)
	; wave barrier
	s_and_saveexec_b64 s[0:1], s[10:11]
	s_cbranch_execz .LBB63_2
; %bb.1:
	v_bcnt_u32_b32 v0, v0, 0
	v_bcnt_u32_b32 v0, v1, v0
	ds_write_b32 v13, v0 offset:8
.LBB63_2:
	s_or_b64 exec, exec, s[0:1]
	v_xor_b32_e32 v0, 0x80000000, v15
	v_lshlrev_b32_e32 v0, s9, v0
	v_lshrrev_b32_e32 v0, s8, v0
	v_cndmask_b32_e64 v0, v0, 0, s[4:5]
	v_lshl_add_u32 v1, v0, 1, v0
	v_add_lshl_u32 v16, v18, v1, 2
	v_and_b32_e32 v1, 1, v0
	v_add_co_u32_e32 v5, vcc, -1, v1
	v_addc_co_u32_e64 v17, s[0:1], 0, -1, vcc
	v_cmp_ne_u32_e32 vcc, 0, v1
	v_xor_b32_e32 v5, vcc_lo, v5
	v_xor_b32_e32 v1, vcc_hi, v17
	v_and_b32_e32 v17, exec_lo, v5
	v_lshlrev_b32_e32 v5, 30, v0
	v_cmp_gt_i64_e32 vcc, 0, v[4:5]
	v_not_b32_e32 v5, v5
	v_ashrrev_i32_e32 v5, 31, v5
	v_xor_b32_e32 v21, vcc_hi, v5
	v_xor_b32_e32 v5, vcc_lo, v5
	v_and_b32_e32 v17, v17, v5
	v_lshlrev_b32_e32 v5, 29, v0
	v_cmp_gt_i64_e32 vcc, 0, v[4:5]
	v_not_b32_e32 v5, v5
	v_and_b32_e32 v1, exec_hi, v1
	v_ashrrev_i32_e32 v5, 31, v5
	v_and_b32_e32 v1, v1, v21
	v_xor_b32_e32 v21, vcc_hi, v5
	v_xor_b32_e32 v5, vcc_lo, v5
	v_and_b32_e32 v17, v17, v5
	v_lshlrev_b32_e32 v5, 28, v0
	v_not_b32_e32 v0, v5
	v_cmp_gt_i64_e32 vcc, 0, v[4:5]
	v_ashrrev_i32_e32 v0, 31, v0
	v_xor_b32_e32 v4, vcc_hi, v0
	v_xor_b32_e32 v0, vcc_lo, v0
	; wave barrier
	ds_read_b32 v15, v16 offset:8
	v_and_b32_e32 v1, v1, v21
	v_and_b32_e32 v0, v17, v0
	;; [unrolled: 1-line block ×3, first 2 shown]
	v_mbcnt_lo_u32_b32 v4, v0, 0
	v_mbcnt_hi_u32_b32 v17, v1, v4
	v_cmp_eq_u32_e32 vcc, 0, v17
	v_cmp_ne_u64_e64 s[0:1], 0, v[0:1]
	s_and_b64 s[10:11], s[0:1], vcc
	; wave barrier
	s_and_saveexec_b64 s[0:1], s[10:11]
	s_cbranch_execz .LBB63_4
; %bb.3:
	v_bcnt_u32_b32 v0, v0, 0
	v_bcnt_u32_b32 v0, v1, v0
	s_waitcnt lgkmcnt(0)
	v_add_u32_e32 v0, v15, v0
	ds_write_b32 v16, v0 offset:8
.LBB63_4:
	s_or_b64 exec, exec, s[0:1]
	v_xor_b32_e32 v0, 0x80000000, v19
	v_lshlrev_b32_e32 v0, s9, v0
	v_lshrrev_b32_e32 v1, s8, v0
	v_cndmask_b32_e64 v4, v1, 0, s[4:5]
	v_lshl_add_u32 v1, v4, 1, v4
	v_add_lshl_u32 v21, v18, v1, 2
	v_and_b32_e32 v1, 1, v4
	v_add_co_u32_e32 v5, vcc, -1, v1
	v_addc_co_u32_e64 v22, s[0:1], 0, -1, vcc
	v_cmp_ne_u32_e32 vcc, 0, v1
	v_xor_b32_e32 v1, vcc_hi, v22
	v_mov_b32_e32 v0, 0
	v_and_b32_e32 v22, exec_hi, v1
	v_lshlrev_b32_e32 v1, 30, v4
	v_xor_b32_e32 v5, vcc_lo, v5
	v_cmp_gt_i64_e32 vcc, 0, v[0:1]
	v_not_b32_e32 v1, v1
	v_ashrrev_i32_e32 v1, 31, v1
	v_and_b32_e32 v5, exec_lo, v5
	v_xor_b32_e32 v23, vcc_hi, v1
	v_xor_b32_e32 v1, vcc_lo, v1
	v_and_b32_e32 v5, v5, v1
	v_lshlrev_b32_e32 v1, 29, v4
	v_cmp_gt_i64_e32 vcc, 0, v[0:1]
	v_not_b32_e32 v1, v1
	v_ashrrev_i32_e32 v1, 31, v1
	v_and_b32_e32 v22, v22, v23
	v_xor_b32_e32 v23, vcc_hi, v1
	v_xor_b32_e32 v1, vcc_lo, v1
	v_and_b32_e32 v22, v22, v23
	v_and_b32_e32 v23, v5, v1
	v_lshlrev_b32_e32 v1, 28, v4
	v_cmp_gt_i64_e32 vcc, 0, v[0:1]
	v_not_b32_e32 v1, v1
	v_ashrrev_i32_e32 v1, 31, v1
	v_xor_b32_e32 v4, vcc_hi, v1
	v_xor_b32_e32 v1, vcc_lo, v1
	; wave barrier
	ds_read_b32 v19, v21 offset:8
	v_and_b32_e32 v5, v22, v4
	v_and_b32_e32 v4, v23, v1
	v_mbcnt_lo_u32_b32 v1, v4, 0
	v_mbcnt_hi_u32_b32 v22, v5, v1
	v_cmp_eq_u32_e32 vcc, 0, v22
	v_cmp_ne_u64_e64 s[0:1], 0, v[4:5]
	s_and_b64 s[10:11], s[0:1], vcc
	; wave barrier
	s_and_saveexec_b64 s[0:1], s[10:11]
	s_cbranch_execz .LBB63_6
; %bb.5:
	v_bcnt_u32_b32 v1, v4, 0
	v_bcnt_u32_b32 v1, v5, v1
	s_waitcnt lgkmcnt(0)
	v_add_u32_e32 v1, v19, v1
	ds_write_b32 v21, v1 offset:8
.LBB63_6:
	s_or_b64 exec, exec, s[0:1]
	v_xor_b32_e32 v1, 0x80000000, v20
	v_lshlrev_b32_e32 v1, s9, v1
	v_lshrrev_b32_e32 v1, s8, v1
	v_cndmask_b32_e64 v20, v1, 0, s[4:5]
	v_lshl_add_u32 v1, v20, 1, v20
	v_add_lshl_u32 v5, v18, v1, 2
	v_and_b32_e32 v1, 1, v20
	v_add_co_u32_e32 v18, vcc, -1, v1
	v_addc_co_u32_e64 v23, s[0:1], 0, -1, vcc
	v_cmp_ne_u32_e32 vcc, 0, v1
	v_xor_b32_e32 v1, vcc_hi, v23
	v_and_b32_e32 v23, exec_hi, v1
	v_lshlrev_b32_e32 v1, 30, v20
	v_xor_b32_e32 v18, vcc_lo, v18
	v_cmp_gt_i64_e32 vcc, 0, v[0:1]
	v_not_b32_e32 v1, v1
	v_ashrrev_i32_e32 v1, 31, v1
	v_and_b32_e32 v18, exec_lo, v18
	v_xor_b32_e32 v24, vcc_hi, v1
	v_xor_b32_e32 v1, vcc_lo, v1
	v_and_b32_e32 v18, v18, v1
	v_lshlrev_b32_e32 v1, 29, v20
	v_cmp_gt_i64_e32 vcc, 0, v[0:1]
	v_not_b32_e32 v1, v1
	v_ashrrev_i32_e32 v1, 31, v1
	v_and_b32_e32 v23, v23, v24
	v_xor_b32_e32 v24, vcc_hi, v1
	v_xor_b32_e32 v1, vcc_lo, v1
	v_and_b32_e32 v18, v18, v1
	v_lshlrev_b32_e32 v1, 28, v20
	v_cmp_gt_i64_e32 vcc, 0, v[0:1]
	v_not_b32_e32 v0, v1
	v_ashrrev_i32_e32 v0, 31, v0
	v_xor_b32_e32 v1, vcc_hi, v0
	v_xor_b32_e32 v0, vcc_lo, v0
	; wave barrier
	ds_read_b32 v4, v5 offset:8
	v_and_b32_e32 v23, v23, v24
	v_and_b32_e32 v0, v18, v0
	;; [unrolled: 1-line block ×3, first 2 shown]
	v_mbcnt_lo_u32_b32 v18, v0, 0
	v_mbcnt_hi_u32_b32 v18, v1, v18
	v_cmp_eq_u32_e32 vcc, 0, v18
	v_cmp_ne_u64_e64 s[0:1], 0, v[0:1]
	s_and_b64 s[4:5], s[0:1], vcc
	; wave barrier
	s_and_saveexec_b64 s[0:1], s[4:5]
	s_cbranch_execz .LBB63_8
; %bb.7:
	v_bcnt_u32_b32 v0, v0, 0
	v_bcnt_u32_b32 v0, v1, v0
	s_waitcnt lgkmcnt(0)
	v_add_u32_e32 v0, v4, v0
	ds_write_b32 v5, v0 offset:8
.LBB63_8:
	s_or_b64 exec, exec, s[0:1]
	; wave barrier
	s_waitcnt lgkmcnt(0)
	s_barrier
	ds_read_b32 v0, v3 offset:8
	v_and_b32_e32 v1, 15, v6
	v_cmp_ne_u32_e32 vcc, 0, v1
	v_min_u32_e32 v12, 64, v12
	v_or_b32_e32 v12, 63, v12
	s_waitcnt lgkmcnt(0)
	v_mov_b32_dpp v20, v0 row_shr:1 row_mask:0xf bank_mask:0xf
	v_cndmask_b32_e32 v20, 0, v20, vcc
	v_add_u32_e32 v0, v20, v0
	v_cmp_lt_u32_e32 vcc, 1, v1
	s_nop 0
	v_mov_b32_dpp v20, v0 row_shr:2 row_mask:0xf bank_mask:0xf
	v_cndmask_b32_e32 v20, 0, v20, vcc
	v_add_u32_e32 v0, v0, v20
	v_cmp_lt_u32_e32 vcc, 3, v1
	s_nop 0
	;; [unrolled: 5-line block ×3, first 2 shown]
	v_mov_b32_dpp v20, v0 row_shr:8 row_mask:0xf bank_mask:0xf
	v_cndmask_b32_e32 v1, 0, v20, vcc
	v_add_u32_e32 v0, v0, v1
	v_bfe_i32 v20, v6, 4, 1
	v_cmp_lt_u32_e32 vcc, 31, v6
	v_mov_b32_dpp v1, v0 row_bcast:15 row_mask:0xf bank_mask:0xf
	v_and_b32_e32 v1, v20, v1
	v_add_u32_e32 v0, v0, v1
	s_nop 1
	v_mov_b32_dpp v1, v0 row_bcast:31 row_mask:0xf bank_mask:0xf
	v_cndmask_b32_e32 v1, 0, v1, vcc
	v_add_u32_e32 v0, v0, v1
	v_lshrrev_b32_e32 v1, 6, v2
	v_cmp_eq_u32_e32 vcc, v12, v2
	s_and_saveexec_b64 s[0:1], vcc
	s_xor_b64 s[0:1], exec, s[0:1]
	s_cbranch_execz .LBB63_10
; %bb.9:
	v_lshlrev_b32_e32 v12, 2, v1
	ds_write_b32 v12, v0
.LBB63_10:
	s_or_b64 exec, exec, s[0:1]
	v_cmp_gt_u32_e32 vcc, 2, v2
	s_waitcnt lgkmcnt(0)
	s_barrier
	s_and_saveexec_b64 s[0:1], vcc
	s_cbranch_execz .LBB63_12
; %bb.11:
	ds_read_b32 v12, v3
	v_bfe_i32 v20, v6, 0, 1
	s_waitcnt lgkmcnt(0)
	v_mov_b32_dpp v23, v12 row_shr:1 row_mask:0xf bank_mask:0xf
	v_and_b32_e32 v20, v20, v23
	v_add_u32_e32 v12, v20, v12
	ds_write_b32 v3, v12
.LBB63_12:
	s_or_b64 exec, exec, s[0:1]
	v_cmp_lt_u32_e32 vcc, 63, v2
	v_mov_b32_e32 v2, 0
	s_waitcnt lgkmcnt(0)
	s_barrier
	s_and_saveexec_b64 s[0:1], vcc
	s_cbranch_execz .LBB63_14
; %bb.13:
	v_lshl_add_u32 v1, v1, 2, -4
	ds_read_b32 v2, v1
.LBB63_14:
	s_or_b64 exec, exec, s[0:1]
	v_add_u32_e32 v1, -1, v6
	v_and_b32_e32 v12, 64, v6
	v_cmp_lt_i32_e32 vcc, v1, v12
	v_cndmask_b32_e32 v1, v1, v6, vcc
	s_waitcnt lgkmcnt(0)
	v_add_u32_e32 v0, v2, v0
	v_lshlrev_b32_e32 v1, 2, v1
	ds_bpermute_b32 v0, v1, v0
	v_cmp_eq_u32_e32 vcc, 0, v6
	s_add_u32 s0, s2, s6
	s_addc_u32 s1, s3, s7
	s_waitcnt lgkmcnt(0)
	v_cndmask_b32_e32 v0, v0, v2, vcc
	ds_write_b32 v3, v0 offset:8
	s_waitcnt lgkmcnt(0)
	s_barrier
	ds_read_b32 v0, v13 offset:8
	ds_read_b32 v1, v16 offset:8
	;; [unrolled: 1-line block ×4, first 2 shown]
	s_waitcnt lgkmcnt(0)
	v_add_u32_e32 v0, v0, v14
	v_add3_u32 v1, v17, v15, v1
	v_add3_u32 v2, v22, v19, v2
	;; [unrolled: 1-line block ×3, first 2 shown]
	s_barrier
	ds_write_b32 v8, v0
	ds_write_b32 v9, v1
	;; [unrolled: 1-line block ×4, first 2 shown]
	; wave barrier
	ds_read2_b32 v[4:5], v7 offset1:1
	ds_read2_b32 v[6:7], v7 offset0:2 offset1:3
	v_lshlrev_b32_e32 v0, 2, v3
	s_waitcnt lgkmcnt(0)
	global_store_dwordx4 v0, v[4:7], s[0:1]
	s_endpgm
	.section	.rodata,"a",@progbits
	.p2align	6, 0x0
	.amdhsa_kernel _Z11rank_kernelILj128ELj4ELj4ELb0EL18RadixRankAlgorithm2EiEvPKT4_Pijj
		.amdhsa_group_segment_fixed_size 2112
		.amdhsa_private_segment_fixed_size 0
		.amdhsa_kernarg_size 280
		.amdhsa_user_sgpr_count 6
		.amdhsa_user_sgpr_private_segment_buffer 1
		.amdhsa_user_sgpr_dispatch_ptr 0
		.amdhsa_user_sgpr_queue_ptr 0
		.amdhsa_user_sgpr_kernarg_segment_ptr 1
		.amdhsa_user_sgpr_dispatch_id 0
		.amdhsa_user_sgpr_flat_scratch_init 0
		.amdhsa_user_sgpr_kernarg_preload_length 0
		.amdhsa_user_sgpr_kernarg_preload_offset 0
		.amdhsa_user_sgpr_private_segment_size 0
		.amdhsa_uses_dynamic_stack 0
		.amdhsa_system_sgpr_private_segment_wavefront_offset 0
		.amdhsa_system_sgpr_workgroup_id_x 1
		.amdhsa_system_sgpr_workgroup_id_y 0
		.amdhsa_system_sgpr_workgroup_id_z 0
		.amdhsa_system_sgpr_workgroup_info 0
		.amdhsa_system_vgpr_workitem_id 2
		.amdhsa_next_free_vgpr 25
		.amdhsa_next_free_sgpr 12
		.amdhsa_accum_offset 28
		.amdhsa_reserve_vcc 1
		.amdhsa_reserve_flat_scratch 0
		.amdhsa_float_round_mode_32 0
		.amdhsa_float_round_mode_16_64 0
		.amdhsa_float_denorm_mode_32 3
		.amdhsa_float_denorm_mode_16_64 3
		.amdhsa_dx10_clamp 1
		.amdhsa_ieee_mode 1
		.amdhsa_fp16_overflow 0
		.amdhsa_tg_split 0
		.amdhsa_exception_fp_ieee_invalid_op 0
		.amdhsa_exception_fp_denorm_src 0
		.amdhsa_exception_fp_ieee_div_zero 0
		.amdhsa_exception_fp_ieee_overflow 0
		.amdhsa_exception_fp_ieee_underflow 0
		.amdhsa_exception_fp_ieee_inexact 0
		.amdhsa_exception_int_div_zero 0
	.end_amdhsa_kernel
	.section	.text._Z11rank_kernelILj128ELj4ELj4ELb0EL18RadixRankAlgorithm2EiEvPKT4_Pijj,"axG",@progbits,_Z11rank_kernelILj128ELj4ELj4ELb0EL18RadixRankAlgorithm2EiEvPKT4_Pijj,comdat
.Lfunc_end63:
	.size	_Z11rank_kernelILj128ELj4ELj4ELb0EL18RadixRankAlgorithm2EiEvPKT4_Pijj, .Lfunc_end63-_Z11rank_kernelILj128ELj4ELj4ELb0EL18RadixRankAlgorithm2EiEvPKT4_Pijj
                                        ; -- End function
	.section	.AMDGPU.csdata,"",@progbits
; Kernel info:
; codeLenInByte = 1908
; NumSgprs: 16
; NumVgprs: 25
; NumAgprs: 0
; TotalNumVgprs: 25
; ScratchSize: 0
; MemoryBound: 0
; FloatMode: 240
; IeeeMode: 1
; LDSByteSize: 2112 bytes/workgroup (compile time only)
; SGPRBlocks: 1
; VGPRBlocks: 3
; NumSGPRsForWavesPerEU: 16
; NumVGPRsForWavesPerEU: 25
; AccumOffset: 28
; Occupancy: 8
; WaveLimiterHint : 0
; COMPUTE_PGM_RSRC2:SCRATCH_EN: 0
; COMPUTE_PGM_RSRC2:USER_SGPR: 6
; COMPUTE_PGM_RSRC2:TRAP_HANDLER: 0
; COMPUTE_PGM_RSRC2:TGID_X_EN: 1
; COMPUTE_PGM_RSRC2:TGID_Y_EN: 0
; COMPUTE_PGM_RSRC2:TGID_Z_EN: 0
; COMPUTE_PGM_RSRC2:TIDIG_COMP_CNT: 2
; COMPUTE_PGM_RSRC3_GFX90A:ACCUM_OFFSET: 6
; COMPUTE_PGM_RSRC3_GFX90A:TG_SPLIT: 0
	.section	.text._Z11rank_kernelILj64ELj2ELj4ELb1EL18RadixRankAlgorithm2EyEvPKT4_Pijj,"axG",@progbits,_Z11rank_kernelILj64ELj2ELj4ELb1EL18RadixRankAlgorithm2EyEvPKT4_Pijj,comdat
	.protected	_Z11rank_kernelILj64ELj2ELj4ELb1EL18RadixRankAlgorithm2EyEvPKT4_Pijj ; -- Begin function _Z11rank_kernelILj64ELj2ELj4ELb1EL18RadixRankAlgorithm2EyEvPKT4_Pijj
	.globl	_Z11rank_kernelILj64ELj2ELj4ELb1EL18RadixRankAlgorithm2EyEvPKT4_Pijj
	.p2align	8
	.type	_Z11rank_kernelILj64ELj2ELj4ELb1EL18RadixRankAlgorithm2EyEvPKT4_Pijj,@function
_Z11rank_kernelILj64ELj2ELj4ELb1EL18RadixRankAlgorithm2EyEvPKT4_Pijj: ; @_Z11rank_kernelILj64ELj2ELj4ELb1EL18RadixRankAlgorithm2EyEvPKT4_Pijj
; %bb.0:
	s_load_dwordx4 s[0:3], s[4:5], 0x0
	s_load_dwordx2 s[8:9], s[4:5], 0x10
	s_lshl_b32 s6, s6, 7
	s_mov_b32 s7, 0
	s_lshl_b64 s[10:11], s[6:7], 3
	v_and_b32_e32 v2, 0x3ff, v0
	s_waitcnt lgkmcnt(0)
	s_add_u32 s0, s0, s10
	s_addc_u32 s1, s1, s11
	v_lshlrev_b32_e32 v1, 4, v2
	global_load_dwordx4 v[12:15], v1, s[0:1]
	v_mbcnt_lo_u32_b32 v1, -1, 0
	s_load_dword s0, s[4:5], 0x24
	v_mbcnt_hi_u32_b32 v3, -1, v1
	v_bfe_u32 v1, v0, 20, 10
	v_bfe_u32 v10, v0, 10, 10
	v_lshlrev_b32_e32 v0, 1, v3
	v_bfe_u32 v4, v3, 4, 27
	v_add_u32_e32 v8, 64, v3
	v_lshrrev_b32_e32 v5, 5, v3
	v_add_u32_e32 v6, v4, v0
	v_lshrrev_b32_e32 v0, 5, v8
	v_add_u32_e32 v7, v5, v3
	v_add_u32_e32 v8, v0, v8
	v_lshlrev_b32_e32 v4, 3, v6
	v_lshlrev_b32_e32 v5, 3, v7
	;; [unrolled: 1-line block ×3, first 2 shown]
	s_waitcnt lgkmcnt(0)
	s_lshr_b32 s1, s0, 16
	v_mul_u32_u24_e32 v11, s1, v1
	s_and_b32 s9, s9, 63
	s_cmp_lg_u32 s9, 0
	s_cselect_b64 s[4:5], -1, 0
	v_mov_b32_e32 v16, 0
	v_lshlrev_b32_e32 v9, 2, v2
	s_and_b64 vcc, exec, s[4:5]
	s_waitcnt vmcnt(0)
	ds_write2_b64 v4, v[12:13], v[14:15] offset1:1
	; wave barrier
	ds_read_b64 v[4:5], v5
	ds_read_b64 v[0:1], v0
	s_waitcnt lgkmcnt(0)
	; wave barrier
	s_waitcnt lgkmcnt(0)
	ds_write_b32 v9, v16 offset:4
	s_waitcnt lgkmcnt(0)
	; wave barrier
	s_waitcnt lgkmcnt(0)
	s_cbranch_vccz .LBB64_2
; %bb.1:
	s_and_b32 s10, s8, 63
	s_add_i32 s10, s10, s9
	s_sub_i32 s10, 64, s10
	s_sub_i32 s1, 64, s9
	v_lshlrev_b64 v[4:5], s10, v[4:5]
	v_lshrrev_b64 v[4:5], s1, v[4:5]
	v_xor_b32_e32 v4, 15, v4
	s_branch .LBB64_3
.LBB64_2:
	v_mov_b32_e32 v4, 15
	v_mov_b32_e32 v5, 0
.LBB64_3:
	s_and_b32 s0, s0, 0xffff
	v_add_u32_e32 v5, v11, v10
	v_mad_u64_u32 v[10:11], s[0:1], v5, s0, v[2:3]
	v_and_b32_e32 v5, 1, v4
	v_add_co_u32_e32 v11, vcc, -1, v5
	v_addc_co_u32_e64 v13, s[0:1], 0, -1, vcc
	v_cmp_ne_u32_e32 vcc, 0, v5
	v_lshlrev_b32_e32 v15, 30, v4
	v_mov_b32_e32 v14, 0
	v_xor_b32_e32 v5, vcc_hi, v13
	v_not_b32_e32 v13, v15
	v_xor_b32_e32 v11, vcc_lo, v11
	v_cmp_gt_i64_e32 vcc, 0, v[14:15]
	v_ashrrev_i32_e32 v13, 31, v13
	v_and_b32_e32 v5, exec_hi, v5
	v_xor_b32_e32 v15, vcc_hi, v13
	v_and_b32_e32 v11, exec_lo, v11
	v_xor_b32_e32 v13, vcc_lo, v13
	v_and_b32_e32 v5, v5, v15
	v_lshlrev_b32_e32 v15, 29, v4
	v_and_b32_e32 v11, v11, v13
	v_not_b32_e32 v13, v15
	v_cmp_gt_i64_e32 vcc, 0, v[14:15]
	v_ashrrev_i32_e32 v13, 31, v13
	v_xor_b32_e32 v15, vcc_hi, v13
	v_lshrrev_b32_e32 v12, 6, v10
	v_and_b32_e32 v5, v5, v15
	v_lshlrev_b32_e32 v15, 28, v4
	v_add_lshl_u32 v10, v12, v4, 2
	v_not_b32_e32 v4, v15
	v_xor_b32_e32 v13, vcc_lo, v13
	v_cmp_gt_i64_e32 vcc, 0, v[14:15]
	v_ashrrev_i32_e32 v4, 31, v4
	v_and_b32_e32 v11, v11, v13
	v_xor_b32_e32 v13, vcc_hi, v4
	v_xor_b32_e32 v4, vcc_lo, v4
	v_and_b32_e32 v4, v11, v4
	v_and_b32_e32 v5, v5, v13
	v_mbcnt_lo_u32_b32 v11, v4, 0
	v_mbcnt_hi_u32_b32 v11, v5, v11
	v_cmp_eq_u32_e32 vcc, 0, v11
	v_cmp_ne_u64_e64 s[0:1], 0, v[4:5]
	s_and_b64 s[10:11], s[0:1], vcc
	; wave barrier
	s_and_saveexec_b64 s[0:1], s[10:11]
	s_cbranch_execz .LBB64_5
; %bb.4:
	v_bcnt_u32_b32 v4, v4, 0
	v_bcnt_u32_b32 v4, v5, v4
	ds_write_b32 v10, v4 offset:4
.LBB64_5:
	s_or_b64 exec, exec, s[0:1]
	s_andn2_b64 vcc, exec, s[4:5]
	; wave barrier
	s_cbranch_vccnz .LBB64_7
; %bb.6:
	s_and_b32 s1, s8, 63
	s_add_i32 s1, s1, s9
	s_sub_i32 s1, 64, s1
	s_sub_i32 s0, 64, s9
	v_lshlrev_b64 v[0:1], s1, v[0:1]
	v_lshrrev_b64 v[0:1], s0, v[0:1]
	v_xor_b32_e32 v0, 15, v0
	s_branch .LBB64_8
.LBB64_7:
	v_mov_b32_e32 v0, 15
	v_mov_b32_e32 v1, 0
.LBB64_8:
	v_and_b32_e32 v1, 1, v0
	v_add_co_u32_e32 v13, vcc, -1, v1
	v_addc_co_u32_e64 v15, s[0:1], 0, -1, vcc
	v_cmp_ne_u32_e32 vcc, 0, v1
	v_mov_b32_e32 v14, 0
	v_xor_b32_e32 v1, vcc_hi, v15
	v_lshlrev_b32_e32 v15, 30, v0
	v_xor_b32_e32 v13, vcc_lo, v13
	v_cmp_gt_i64_e32 vcc, 0, v[14:15]
	v_not_b32_e32 v15, v15
	v_ashrrev_i32_e32 v15, 31, v15
	v_and_b32_e32 v13, exec_lo, v13
	v_xor_b32_e32 v16, vcc_hi, v15
	v_xor_b32_e32 v15, vcc_lo, v15
	v_and_b32_e32 v13, v13, v15
	v_lshlrev_b32_e32 v15, 29, v0
	v_cmp_gt_i64_e32 vcc, 0, v[14:15]
	v_not_b32_e32 v15, v15
	v_and_b32_e32 v1, exec_hi, v1
	v_ashrrev_i32_e32 v15, 31, v15
	v_and_b32_e32 v1, v1, v16
	v_xor_b32_e32 v16, vcc_hi, v15
	v_xor_b32_e32 v15, vcc_lo, v15
	v_and_b32_e32 v13, v13, v15
	v_lshlrev_b32_e32 v15, 28, v0
	v_add_lshl_u32 v12, v12, v0, 2
	v_not_b32_e32 v0, v15
	v_cmp_gt_i64_e32 vcc, 0, v[14:15]
	v_ashrrev_i32_e32 v0, 31, v0
	v_xor_b32_e32 v14, vcc_hi, v0
	v_xor_b32_e32 v0, vcc_lo, v0
	ds_read_b32 v5, v12 offset:4
	v_and_b32_e32 v1, v1, v16
	v_and_b32_e32 v0, v13, v0
	;; [unrolled: 1-line block ×3, first 2 shown]
	v_mbcnt_lo_u32_b32 v13, v0, 0
	v_mbcnt_hi_u32_b32 v13, v1, v13
	v_cmp_eq_u32_e32 vcc, 0, v13
	v_cmp_ne_u64_e64 s[0:1], 0, v[0:1]
	v_lshlrev_b32_e32 v4, 1, v2
	s_and_b64 s[4:5], s[0:1], vcc
	; wave barrier
	s_and_saveexec_b64 s[0:1], s[4:5]
	s_cbranch_execz .LBB64_10
; %bb.9:
	v_bcnt_u32_b32 v0, v0, 0
	v_bcnt_u32_b32 v0, v1, v0
	s_waitcnt lgkmcnt(0)
	v_add_u32_e32 v0, v5, v0
	ds_write_b32 v12, v0 offset:4
.LBB64_10:
	s_or_b64 exec, exec, s[0:1]
	; wave barrier
	s_waitcnt lgkmcnt(0)
	; wave barrier
	s_waitcnt lgkmcnt(0)
	ds_read_b32 v0, v9 offset:4
	v_and_b32_e32 v1, 15, v3
	v_cmp_ne_u32_e32 vcc, 0, v1
	s_waitcnt lgkmcnt(0)
	v_mov_b32_dpp v14, v0 row_shr:1 row_mask:0xf bank_mask:0xf
	v_cndmask_b32_e32 v14, 0, v14, vcc
	v_add_u32_e32 v0, v14, v0
	v_cmp_lt_u32_e32 vcc, 1, v1
	s_nop 0
	v_mov_b32_dpp v14, v0 row_shr:2 row_mask:0xf bank_mask:0xf
	v_cndmask_b32_e32 v14, 0, v14, vcc
	v_add_u32_e32 v0, v0, v14
	v_cmp_lt_u32_e32 vcc, 3, v1
	s_nop 0
	;; [unrolled: 5-line block ×3, first 2 shown]
	v_mov_b32_dpp v14, v0 row_shr:8 row_mask:0xf bank_mask:0xf
	v_cndmask_b32_e32 v1, 0, v14, vcc
	v_add_u32_e32 v0, v0, v1
	v_bfe_i32 v14, v3, 4, 1
	v_cmp_lt_u32_e32 vcc, 31, v3
	v_mov_b32_dpp v1, v0 row_bcast:15 row_mask:0xf bank_mask:0xf
	v_and_b32_e32 v1, v14, v1
	v_add_u32_e32 v0, v0, v1
	s_nop 1
	v_mov_b32_dpp v1, v0 row_bcast:31 row_mask:0xf bank_mask:0xf
	v_cndmask_b32_e32 v1, 0, v1, vcc
	v_add_u32_e32 v0, v0, v1
	v_cmp_eq_u32_e32 vcc, 63, v2
	s_and_saveexec_b64 s[0:1], vcc
	s_cbranch_execz .LBB64_12
; %bb.11:
	v_mov_b32_e32 v1, 0
	ds_write_b32 v1, v0
.LBB64_12:
	s_or_b64 exec, exec, s[0:1]
	v_add_u32_e32 v1, -1, v3
	v_and_b32_e32 v2, 64, v3
	v_cmp_lt_i32_e32 vcc, v1, v2
	v_cndmask_b32_e32 v1, v1, v3, vcc
	v_lshlrev_b32_e32 v1, 2, v1
	ds_bpermute_b32 v0, v1, v0
	v_cmp_ne_u32_e32 vcc, 0, v3
	s_waitcnt lgkmcnt(0)
	; wave barrier
	s_waitcnt lgkmcnt(0)
	v_lshlrev_b32_e32 v2, 2, v7
	v_cndmask_b32_e32 v0, 0, v0, vcc
	ds_write_b32 v9, v0 offset:4
	s_waitcnt lgkmcnt(0)
	; wave barrier
	s_waitcnt lgkmcnt(0)
	ds_read_b32 v0, v10 offset:4
	ds_read_b32 v1, v12 offset:4
	s_waitcnt lgkmcnt(0)
	; wave barrier
	s_waitcnt lgkmcnt(0)
	s_lshl_b64 s[0:1], s[6:7], 2
	v_add_u32_e32 v0, v0, v11
	v_add3_u32 v1, v13, v5, v1
	ds_write_b32 v2, v0
	v_lshlrev_b32_e32 v0, 2, v8
	ds_write_b32 v0, v1
	v_lshlrev_b32_e32 v0, 2, v6
	; wave barrier
	ds_read2_b32 v[0:1], v0 offset1:1
	s_add_u32 s0, s2, s0
	s_addc_u32 s1, s3, s1
	v_lshlrev_b32_e32 v2, 2, v4
	s_waitcnt lgkmcnt(0)
	global_store_dwordx2 v2, v[0:1], s[0:1]
	s_endpgm
	.section	.rodata,"a",@progbits
	.p2align	6, 0x0
	.amdhsa_kernel _Z11rank_kernelILj64ELj2ELj4ELb1EL18RadixRankAlgorithm2EyEvPKT4_Pijj
		.amdhsa_group_segment_fixed_size 1056
		.amdhsa_private_segment_fixed_size 0
		.amdhsa_kernarg_size 280
		.amdhsa_user_sgpr_count 6
		.amdhsa_user_sgpr_private_segment_buffer 1
		.amdhsa_user_sgpr_dispatch_ptr 0
		.amdhsa_user_sgpr_queue_ptr 0
		.amdhsa_user_sgpr_kernarg_segment_ptr 1
		.amdhsa_user_sgpr_dispatch_id 0
		.amdhsa_user_sgpr_flat_scratch_init 0
		.amdhsa_user_sgpr_kernarg_preload_length 0
		.amdhsa_user_sgpr_kernarg_preload_offset 0
		.amdhsa_user_sgpr_private_segment_size 0
		.amdhsa_uses_dynamic_stack 0
		.amdhsa_system_sgpr_private_segment_wavefront_offset 0
		.amdhsa_system_sgpr_workgroup_id_x 1
		.amdhsa_system_sgpr_workgroup_id_y 0
		.amdhsa_system_sgpr_workgroup_id_z 0
		.amdhsa_system_sgpr_workgroup_info 0
		.amdhsa_system_vgpr_workitem_id 2
		.amdhsa_next_free_vgpr 17
		.amdhsa_next_free_sgpr 12
		.amdhsa_accum_offset 20
		.amdhsa_reserve_vcc 1
		.amdhsa_reserve_flat_scratch 0
		.amdhsa_float_round_mode_32 0
		.amdhsa_float_round_mode_16_64 0
		.amdhsa_float_denorm_mode_32 3
		.amdhsa_float_denorm_mode_16_64 3
		.amdhsa_dx10_clamp 1
		.amdhsa_ieee_mode 1
		.amdhsa_fp16_overflow 0
		.amdhsa_tg_split 0
		.amdhsa_exception_fp_ieee_invalid_op 0
		.amdhsa_exception_fp_denorm_src 0
		.amdhsa_exception_fp_ieee_div_zero 0
		.amdhsa_exception_fp_ieee_overflow 0
		.amdhsa_exception_fp_ieee_underflow 0
		.amdhsa_exception_fp_ieee_inexact 0
		.amdhsa_exception_int_div_zero 0
	.end_amdhsa_kernel
	.section	.text._Z11rank_kernelILj64ELj2ELj4ELb1EL18RadixRankAlgorithm2EyEvPKT4_Pijj,"axG",@progbits,_Z11rank_kernelILj64ELj2ELj4ELb1EL18RadixRankAlgorithm2EyEvPKT4_Pijj,comdat
.Lfunc_end64:
	.size	_Z11rank_kernelILj64ELj2ELj4ELb1EL18RadixRankAlgorithm2EyEvPKT4_Pijj, .Lfunc_end64-_Z11rank_kernelILj64ELj2ELj4ELb1EL18RadixRankAlgorithm2EyEvPKT4_Pijj
                                        ; -- End function
	.section	.AMDGPU.csdata,"",@progbits
; Kernel info:
; codeLenInByte = 1168
; NumSgprs: 16
; NumVgprs: 17
; NumAgprs: 0
; TotalNumVgprs: 17
; ScratchSize: 0
; MemoryBound: 0
; FloatMode: 240
; IeeeMode: 1
; LDSByteSize: 1056 bytes/workgroup (compile time only)
; SGPRBlocks: 1
; VGPRBlocks: 2
; NumSGPRsForWavesPerEU: 16
; NumVGPRsForWavesPerEU: 17
; AccumOffset: 20
; Occupancy: 8
; WaveLimiterHint : 0
; COMPUTE_PGM_RSRC2:SCRATCH_EN: 0
; COMPUTE_PGM_RSRC2:USER_SGPR: 6
; COMPUTE_PGM_RSRC2:TRAP_HANDLER: 0
; COMPUTE_PGM_RSRC2:TGID_X_EN: 1
; COMPUTE_PGM_RSRC2:TGID_Y_EN: 0
; COMPUTE_PGM_RSRC2:TGID_Z_EN: 0
; COMPUTE_PGM_RSRC2:TIDIG_COMP_CNT: 2
; COMPUTE_PGM_RSRC3_GFX90A:ACCUM_OFFSET: 4
; COMPUTE_PGM_RSRC3_GFX90A:TG_SPLIT: 0
	.section	.text._Z11rank_kernelILj255ELj1ELj4ELb0EL18RadixRankAlgorithm2EhEvPKT4_Pijj,"axG",@progbits,_Z11rank_kernelILj255ELj1ELj4ELb0EL18RadixRankAlgorithm2EhEvPKT4_Pijj,comdat
	.protected	_Z11rank_kernelILj255ELj1ELj4ELb0EL18RadixRankAlgorithm2EhEvPKT4_Pijj ; -- Begin function _Z11rank_kernelILj255ELj1ELj4ELb0EL18RadixRankAlgorithm2EhEvPKT4_Pijj
	.globl	_Z11rank_kernelILj255ELj1ELj4ELb0EL18RadixRankAlgorithm2EhEvPKT4_Pijj
	.p2align	8
	.type	_Z11rank_kernelILj255ELj1ELj4ELb0EL18RadixRankAlgorithm2EhEvPKT4_Pijj,@function
_Z11rank_kernelILj255ELj1ELj4ELb0EL18RadixRankAlgorithm2EhEvPKT4_Pijj: ; @_Z11rank_kernelILj255ELj1ELj4ELb0EL18RadixRankAlgorithm2EhEvPKT4_Pijj
; %bb.0:
	s_load_dwordx4 s[0:3], s[4:5], 0x0
	s_load_dwordx2 s[8:9], s[4:5], 0x10
	s_mulk_i32 s6, 0xff
	v_and_b32_e32 v2, 0x3ff, v0
	v_mbcnt_lo_u32_b32 v1, -1, 0
	s_waitcnt lgkmcnt(0)
	s_add_u32 s0, s0, s6
	s_addc_u32 s1, s1, 0
	global_load_ubyte v7, v2, s[0:1]
	s_load_dword s0, s[4:5], 0x24
	v_mbcnt_hi_u32_b32 v4, -1, v1
	v_bfe_u32 v1, v0, 10, 10
	v_bfe_u32 v0, v0, 20, 10
	v_and_b32_e32 v6, 0xc0, v2
	s_waitcnt lgkmcnt(0)
	s_lshr_b32 s1, s0, 16
	v_lshlrev_b32_e32 v3, 2, v2
	s_and_b32 s0, s0, 0xffff
	v_mad_u32_u24 v0, v0, s1, v1
	v_add_u32_e32 v5, v4, v6
	v_mad_u64_u32 v[0:1], s[0:1], v0, s0, v[2:3]
	s_and_b32 s4, s9, 31
	s_and_b32 s5, s8, 31
	s_add_i32 s5, s5, s4
	s_sub_i32 s8, 32, s4
	s_sub_i32 s0, 32, s5
	s_cmp_lg_u32 s4, 0
	s_cselect_b64 vcc, -1, 0
	v_lshrrev_b32_e32 v0, 6, v0
	v_mov_b32_e32 v8, 0
	s_mov_b32 s7, 0
	s_waitcnt vmcnt(0)
	ds_write_b8 v5, v7
	; wave barrier
	ds_read_u8 v1, v5
	s_waitcnt lgkmcnt(0)
	s_barrier
	ds_write_b32 v3, v8 offset:16
	v_lshlrev_b32_e32 v1, s0, v1
	v_bfe_u32 v1, v1, s8, 8
	v_cndmask_b32_e32 v1, 0, v1, vcc
	v_mul_u32_u24_e32 v7, 5, v1
	v_and_b32_e32 v10, 1, v1
	v_add_lshl_u32 v7, v0, v7, 2
	v_add_co_u32_e32 v0, vcc, -1, v10
	v_lshlrev_b32_e32 v9, 30, v1
	v_addc_co_u32_e64 v11, s[0:1], 0, -1, vcc
	v_cmp_ne_u32_e32 vcc, 0, v10
	v_cmp_gt_i64_e64 s[0:1], 0, v[8:9]
	v_not_b32_e32 v10, v9
	v_lshlrev_b32_e32 v9, 29, v1
	v_xor_b32_e32 v11, vcc_hi, v11
	v_xor_b32_e32 v0, vcc_lo, v0
	v_ashrrev_i32_e32 v10, 31, v10
	v_cmp_gt_i64_e32 vcc, 0, v[8:9]
	v_not_b32_e32 v12, v9
	v_lshlrev_b32_e32 v9, 28, v1
	v_and_b32_e32 v1, exec_hi, v11
	v_and_b32_e32 v0, exec_lo, v0
	v_xor_b32_e32 v11, s1, v10
	v_xor_b32_e32 v10, s0, v10
	v_ashrrev_i32_e32 v12, 31, v12
	v_cmp_gt_i64_e64 s[0:1], 0, v[8:9]
	v_not_b32_e32 v8, v9
	v_and_b32_e32 v1, v1, v11
	v_and_b32_e32 v0, v0, v10
	v_xor_b32_e32 v9, vcc_hi, v12
	v_xor_b32_e32 v10, vcc_lo, v12
	v_ashrrev_i32_e32 v8, 31, v8
	v_and_b32_e32 v1, v1, v9
	v_and_b32_e32 v0, v0, v10
	v_xor_b32_e32 v9, s1, v8
	v_xor_b32_e32 v8, s0, v8
	v_and_b32_e32 v0, v0, v8
	v_and_b32_e32 v1, v1, v9
	v_mbcnt_lo_u32_b32 v8, v0, 0
	v_mbcnt_hi_u32_b32 v8, v1, v8
	v_cmp_eq_u32_e32 vcc, 0, v8
	v_cmp_ne_u64_e64 s[0:1], 0, v[0:1]
	s_and_b64 s[4:5], s[0:1], vcc
	s_waitcnt lgkmcnt(0)
	s_barrier
	s_waitcnt lgkmcnt(0)
	; wave barrier
	s_and_saveexec_b64 s[0:1], s[4:5]
	s_cbranch_execz .LBB65_2
; %bb.1:
	v_bcnt_u32_b32 v0, v0, 0
	v_bcnt_u32_b32 v0, v1, v0
	ds_write_b32 v7, v0 offset:16
.LBB65_2:
	s_or_b64 exec, exec, s[0:1]
	; wave barrier
	s_waitcnt lgkmcnt(0)
	s_barrier
	ds_read_b32 v0, v3 offset:16
	v_and_b32_e32 v1, 15, v4
	v_cmp_ne_u32_e32 vcc, 0, v1
	v_min_u32_e32 v6, 0xbf, v6
	v_add_u32_e32 v6, 63, v6
	s_waitcnt lgkmcnt(0)
	v_mov_b32_dpp v9, v0 row_shr:1 row_mask:0xf bank_mask:0xf
	v_cndmask_b32_e32 v9, 0, v9, vcc
	v_add_u32_e32 v0, v9, v0
	v_cmp_lt_u32_e32 vcc, 1, v1
	s_nop 0
	v_mov_b32_dpp v9, v0 row_shr:2 row_mask:0xf bank_mask:0xf
	v_cndmask_b32_e32 v9, 0, v9, vcc
	v_add_u32_e32 v0, v0, v9
	v_cmp_lt_u32_e32 vcc, 3, v1
	s_nop 0
	;; [unrolled: 5-line block ×3, first 2 shown]
	v_mov_b32_dpp v9, v0 row_shr:8 row_mask:0xf bank_mask:0xf
	v_cndmask_b32_e32 v1, 0, v9, vcc
	v_add_u32_e32 v0, v0, v1
	v_bfe_i32 v9, v4, 4, 1
	v_cmp_lt_u32_e32 vcc, 31, v4
	v_mov_b32_dpp v1, v0 row_bcast:15 row_mask:0xf bank_mask:0xf
	v_and_b32_e32 v1, v9, v1
	v_add_u32_e32 v0, v0, v1
	s_nop 1
	v_mov_b32_dpp v1, v0 row_bcast:31 row_mask:0xf bank_mask:0xf
	v_cndmask_b32_e32 v1, 0, v1, vcc
	v_add_u32_e32 v0, v0, v1
	v_lshrrev_b32_e32 v1, 6, v2
	v_cmp_eq_u32_e32 vcc, v6, v2
	s_and_saveexec_b64 s[0:1], vcc
	s_cbranch_execz .LBB65_4
; %bb.3:
	v_lshlrev_b32_e32 v6, 2, v1
	ds_write_b32 v6, v0
.LBB65_4:
	s_or_b64 exec, exec, s[0:1]
	v_cmp_gt_u32_e32 vcc, 4, v2
	s_waitcnt lgkmcnt(0)
	s_barrier
	s_and_saveexec_b64 s[0:1], vcc
	s_cbranch_execz .LBB65_6
; %bb.5:
	ds_read_b32 v6, v3
	v_and_b32_e32 v9, 3, v4
	v_cmp_ne_u32_e32 vcc, 0, v9
	s_waitcnt lgkmcnt(0)
	v_mov_b32_dpp v10, v6 row_shr:1 row_mask:0xf bank_mask:0xf
	v_cndmask_b32_e32 v10, 0, v10, vcc
	v_add_u32_e32 v6, v10, v6
	v_cmp_lt_u32_e32 vcc, 1, v9
	s_nop 0
	v_mov_b32_dpp v10, v6 row_shr:2 row_mask:0xf bank_mask:0xf
	v_cndmask_b32_e32 v9, 0, v10, vcc
	v_add_u32_e32 v6, v6, v9
	ds_write_b32 v3, v6
.LBB65_6:
	s_or_b64 exec, exec, s[0:1]
	v_cmp_lt_u32_e32 vcc, 63, v2
	v_mov_b32_e32 v2, 0
	s_waitcnt lgkmcnt(0)
	s_barrier
	s_and_saveexec_b64 s[0:1], vcc
	s_cbranch_execz .LBB65_8
; %bb.7:
	v_lshl_add_u32 v1, v1, 2, -4
	ds_read_b32 v2, v1
.LBB65_8:
	s_or_b64 exec, exec, s[0:1]
	v_add_u32_e32 v1, -1, v4
	v_and_b32_e32 v6, 64, v4
	v_cmp_lt_i32_e32 vcc, v1, v6
	v_cndmask_b32_e32 v1, v1, v4, vcc
	s_waitcnt lgkmcnt(0)
	v_add_u32_e32 v0, v2, v0
	v_lshlrev_b32_e32 v1, 2, v1
	ds_bpermute_b32 v0, v1, v0
	v_cmp_eq_u32_e32 vcc, 0, v4
	v_lshlrev_b32_e32 v1, 2, v5
	s_lshl_b64 s[0:1], s[6:7], 2
	s_add_u32 s0, s2, s0
	s_waitcnt lgkmcnt(0)
	v_cndmask_b32_e32 v0, v0, v2, vcc
	ds_write_b32 v3, v0 offset:16
	s_waitcnt lgkmcnt(0)
	s_barrier
	ds_read_b32 v0, v7 offset:16
	s_waitcnt lgkmcnt(0)
	s_barrier
	s_addc_u32 s1, s3, s1
	v_add_u32_e32 v0, v0, v8
	ds_write_b32 v1, v0
	; wave barrier
	ds_read_b32 v0, v1
	s_waitcnt lgkmcnt(0)
	global_store_dword v3, v0, s[0:1]
	s_endpgm
	.section	.rodata,"a",@progbits
	.p2align	6, 0x0
	.amdhsa_kernel _Z11rank_kernelILj255ELj1ELj4ELb0EL18RadixRankAlgorithm2EhEvPKT4_Pijj
		.amdhsa_group_segment_fixed_size 1040
		.amdhsa_private_segment_fixed_size 0
		.amdhsa_kernarg_size 280
		.amdhsa_user_sgpr_count 6
		.amdhsa_user_sgpr_private_segment_buffer 1
		.amdhsa_user_sgpr_dispatch_ptr 0
		.amdhsa_user_sgpr_queue_ptr 0
		.amdhsa_user_sgpr_kernarg_segment_ptr 1
		.amdhsa_user_sgpr_dispatch_id 0
		.amdhsa_user_sgpr_flat_scratch_init 0
		.amdhsa_user_sgpr_kernarg_preload_length 0
		.amdhsa_user_sgpr_kernarg_preload_offset 0
		.amdhsa_user_sgpr_private_segment_size 0
		.amdhsa_uses_dynamic_stack 0
		.amdhsa_system_sgpr_private_segment_wavefront_offset 0
		.amdhsa_system_sgpr_workgroup_id_x 1
		.amdhsa_system_sgpr_workgroup_id_y 0
		.amdhsa_system_sgpr_workgroup_id_z 0
		.amdhsa_system_sgpr_workgroup_info 0
		.amdhsa_system_vgpr_workitem_id 2
		.amdhsa_next_free_vgpr 13
		.amdhsa_next_free_sgpr 10
		.amdhsa_accum_offset 16
		.amdhsa_reserve_vcc 1
		.amdhsa_reserve_flat_scratch 0
		.amdhsa_float_round_mode_32 0
		.amdhsa_float_round_mode_16_64 0
		.amdhsa_float_denorm_mode_32 3
		.amdhsa_float_denorm_mode_16_64 3
		.amdhsa_dx10_clamp 1
		.amdhsa_ieee_mode 1
		.amdhsa_fp16_overflow 0
		.amdhsa_tg_split 0
		.amdhsa_exception_fp_ieee_invalid_op 0
		.amdhsa_exception_fp_denorm_src 0
		.amdhsa_exception_fp_ieee_div_zero 0
		.amdhsa_exception_fp_ieee_overflow 0
		.amdhsa_exception_fp_ieee_underflow 0
		.amdhsa_exception_fp_ieee_inexact 0
		.amdhsa_exception_int_div_zero 0
	.end_amdhsa_kernel
	.section	.text._Z11rank_kernelILj255ELj1ELj4ELb0EL18RadixRankAlgorithm2EhEvPKT4_Pijj,"axG",@progbits,_Z11rank_kernelILj255ELj1ELj4ELb0EL18RadixRankAlgorithm2EhEvPKT4_Pijj,comdat
.Lfunc_end65:
	.size	_Z11rank_kernelILj255ELj1ELj4ELb0EL18RadixRankAlgorithm2EhEvPKT4_Pijj, .Lfunc_end65-_Z11rank_kernelILj255ELj1ELj4ELb0EL18RadixRankAlgorithm2EhEvPKT4_Pijj
                                        ; -- End function
	.section	.AMDGPU.csdata,"",@progbits
; Kernel info:
; codeLenInByte = 936
; NumSgprs: 14
; NumVgprs: 13
; NumAgprs: 0
; TotalNumVgprs: 13
; ScratchSize: 0
; MemoryBound: 0
; FloatMode: 240
; IeeeMode: 1
; LDSByteSize: 1040 bytes/workgroup (compile time only)
; SGPRBlocks: 1
; VGPRBlocks: 1
; NumSGPRsForWavesPerEU: 14
; NumVGPRsForWavesPerEU: 13
; AccumOffset: 16
; Occupancy: 8
; WaveLimiterHint : 0
; COMPUTE_PGM_RSRC2:SCRATCH_EN: 0
; COMPUTE_PGM_RSRC2:USER_SGPR: 6
; COMPUTE_PGM_RSRC2:TRAP_HANDLER: 0
; COMPUTE_PGM_RSRC2:TGID_X_EN: 1
; COMPUTE_PGM_RSRC2:TGID_Y_EN: 0
; COMPUTE_PGM_RSRC2:TGID_Z_EN: 0
; COMPUTE_PGM_RSRC2:TIDIG_COMP_CNT: 2
; COMPUTE_PGM_RSRC3_GFX90A:ACCUM_OFFSET: 3
; COMPUTE_PGM_RSRC3_GFX90A:TG_SPLIT: 0
	.section	.text._Z11rank_kernelILj162ELj1ELj4ELb0EL18RadixRankAlgorithm2EjEvPKT4_Pijj,"axG",@progbits,_Z11rank_kernelILj162ELj1ELj4ELb0EL18RadixRankAlgorithm2EjEvPKT4_Pijj,comdat
	.protected	_Z11rank_kernelILj162ELj1ELj4ELb0EL18RadixRankAlgorithm2EjEvPKT4_Pijj ; -- Begin function _Z11rank_kernelILj162ELj1ELj4ELb0EL18RadixRankAlgorithm2EjEvPKT4_Pijj
	.globl	_Z11rank_kernelILj162ELj1ELj4ELb0EL18RadixRankAlgorithm2EjEvPKT4_Pijj
	.p2align	8
	.type	_Z11rank_kernelILj162ELj1ELj4ELb0EL18RadixRankAlgorithm2EjEvPKT4_Pijj,@function
_Z11rank_kernelILj162ELj1ELj4ELb0EL18RadixRankAlgorithm2EjEvPKT4_Pijj: ; @_Z11rank_kernelILj162ELj1ELj4ELb0EL18RadixRankAlgorithm2EjEvPKT4_Pijj
; %bb.0:
	s_load_dwordx4 s[0:3], s[4:5], 0x0
	s_load_dwordx2 s[8:9], s[4:5], 0x10
	s_mulk_i32 s6, 0xa2
	s_mov_b32 s7, 0
	s_lshl_b64 s[6:7], s[6:7], 2
	s_waitcnt lgkmcnt(0)
	s_add_u32 s0, s0, s6
	v_and_b32_e32 v2, 0x3ff, v0
	s_addc_u32 s1, s1, s7
	v_lshlrev_b32_e32 v3, 2, v2
	global_load_dword v7, v3, s[0:1]
	s_load_dword s0, s[4:5], 0x24
	v_mbcnt_lo_u32_b32 v1, -1, 0
	v_mbcnt_hi_u32_b32 v4, -1, v1
	v_bfe_u32 v1, v0, 10, 10
	v_bfe_u32 v0, v0, 20, 10
	s_waitcnt lgkmcnt(0)
	s_lshr_b32 s1, s0, 16
	v_and_b32_e32 v6, 0xc0, v2
	s_and_b32 s0, s0, 0xffff
	v_mad_u32_u24 v0, v0, s1, v1
	v_add_lshl_u32 v5, v4, v6, 2
	v_mad_u64_u32 v[0:1], s[0:1], v0, s0, v[2:3]
	s_and_b32 s4, s9, 31
	s_and_b32 s5, s8, 31
	s_add_i32 s5, s5, s4
	s_sub_i32 s8, 32, s4
	s_sub_i32 s0, 32, s5
	s_cmp_lg_u32 s4, 0
	s_cselect_b64 vcc, -1, 0
	v_lshrrev_b32_e32 v0, 6, v0
	v_mov_b32_e32 v8, 0
	s_waitcnt vmcnt(0)
	ds_write_b32 v5, v7
	; wave barrier
	ds_read_b32 v1, v5
	s_waitcnt lgkmcnt(0)
	s_barrier
	ds_write_b32 v3, v8 offset:12
	v_lshlrev_b32_e32 v1, s0, v1
	v_lshrrev_b32_e32 v1, s8, v1
	v_cndmask_b32_e32 v1, 0, v1, vcc
	v_lshl_add_u32 v7, v1, 1, v1
	v_and_b32_e32 v10, 1, v1
	v_add_lshl_u32 v7, v0, v7, 2
	v_add_co_u32_e32 v0, vcc, -1, v10
	v_lshlrev_b32_e32 v9, 30, v1
	v_addc_co_u32_e64 v11, s[0:1], 0, -1, vcc
	v_cmp_ne_u32_e32 vcc, 0, v10
	v_cmp_gt_i64_e64 s[0:1], 0, v[8:9]
	v_not_b32_e32 v10, v9
	v_lshlrev_b32_e32 v9, 29, v1
	v_xor_b32_e32 v11, vcc_hi, v11
	v_xor_b32_e32 v0, vcc_lo, v0
	v_ashrrev_i32_e32 v10, 31, v10
	v_cmp_gt_i64_e32 vcc, 0, v[8:9]
	v_not_b32_e32 v12, v9
	v_lshlrev_b32_e32 v9, 28, v1
	v_and_b32_e32 v1, exec_hi, v11
	v_and_b32_e32 v0, exec_lo, v0
	v_xor_b32_e32 v11, s1, v10
	v_xor_b32_e32 v10, s0, v10
	v_ashrrev_i32_e32 v12, 31, v12
	v_cmp_gt_i64_e64 s[0:1], 0, v[8:9]
	v_not_b32_e32 v8, v9
	v_and_b32_e32 v1, v1, v11
	v_and_b32_e32 v0, v0, v10
	v_xor_b32_e32 v9, vcc_hi, v12
	v_xor_b32_e32 v10, vcc_lo, v12
	v_ashrrev_i32_e32 v8, 31, v8
	v_and_b32_e32 v1, v1, v9
	v_and_b32_e32 v0, v0, v10
	v_xor_b32_e32 v9, s1, v8
	v_xor_b32_e32 v8, s0, v8
	v_and_b32_e32 v0, v0, v8
	v_and_b32_e32 v1, v1, v9
	v_mbcnt_lo_u32_b32 v8, v0, 0
	v_mbcnt_hi_u32_b32 v8, v1, v8
	v_cmp_eq_u32_e32 vcc, 0, v8
	v_cmp_ne_u64_e64 s[0:1], 0, v[0:1]
	s_and_b64 s[4:5], s[0:1], vcc
	s_waitcnt lgkmcnt(0)
	s_barrier
	s_waitcnt lgkmcnt(0)
	; wave barrier
	s_and_saveexec_b64 s[0:1], s[4:5]
	s_cbranch_execz .LBB66_2
; %bb.1:
	v_bcnt_u32_b32 v0, v0, 0
	v_bcnt_u32_b32 v0, v1, v0
	ds_write_b32 v7, v0 offset:12
.LBB66_2:
	s_or_b64 exec, exec, s[0:1]
	; wave barrier
	s_waitcnt lgkmcnt(0)
	s_barrier
	ds_read_b32 v0, v3 offset:12
	v_and_b32_e32 v1, 15, v4
	v_cmp_ne_u32_e32 vcc, 0, v1
	v_min_u32_e32 v6, 0x62, v6
	v_add_u32_e32 v6, 63, v6
	s_waitcnt lgkmcnt(0)
	v_mov_b32_dpp v9, v0 row_shr:1 row_mask:0xf bank_mask:0xf
	v_cndmask_b32_e32 v9, 0, v9, vcc
	v_add_u32_e32 v0, v9, v0
	v_cmp_lt_u32_e32 vcc, 1, v1
	s_nop 0
	v_mov_b32_dpp v9, v0 row_shr:2 row_mask:0xf bank_mask:0xf
	v_cndmask_b32_e32 v9, 0, v9, vcc
	v_add_u32_e32 v0, v0, v9
	v_cmp_lt_u32_e32 vcc, 3, v1
	s_nop 0
	;; [unrolled: 5-line block ×3, first 2 shown]
	v_mov_b32_dpp v9, v0 row_shr:8 row_mask:0xf bank_mask:0xf
	v_cndmask_b32_e32 v1, 0, v9, vcc
	v_add_u32_e32 v0, v0, v1
	v_bfe_i32 v9, v4, 4, 1
	v_cmp_lt_u32_e32 vcc, 31, v4
	v_mov_b32_dpp v1, v0 row_bcast:15 row_mask:0xf bank_mask:0xf
	v_and_b32_e32 v1, v9, v1
	v_add_u32_e32 v0, v0, v1
	s_nop 1
	v_mov_b32_dpp v1, v0 row_bcast:31 row_mask:0xf bank_mask:0xf
	v_cndmask_b32_e32 v1, 0, v1, vcc
	v_add_u32_e32 v0, v0, v1
	v_lshrrev_b32_e32 v1, 6, v2
	v_cmp_eq_u32_e32 vcc, v6, v2
	s_and_saveexec_b64 s[0:1], vcc
	s_cbranch_execz .LBB66_4
; %bb.3:
	v_lshlrev_b32_e32 v6, 2, v1
	ds_write_b32 v6, v0
.LBB66_4:
	s_or_b64 exec, exec, s[0:1]
	v_cmp_gt_u32_e32 vcc, 3, v2
	s_waitcnt lgkmcnt(0)
	s_barrier
	s_and_saveexec_b64 s[0:1], vcc
	s_cbranch_execz .LBB66_6
; %bb.5:
	ds_read_b32 v6, v3
	v_and_b32_e32 v9, 3, v4
	v_cmp_ne_u32_e32 vcc, 0, v9
	s_waitcnt lgkmcnt(0)
	v_mov_b32_dpp v10, v6 row_shr:1 row_mask:0xf bank_mask:0xf
	v_cndmask_b32_e32 v10, 0, v10, vcc
	v_add_u32_e32 v6, v10, v6
	v_cmp_lt_u32_e32 vcc, 1, v9
	s_nop 0
	v_mov_b32_dpp v10, v6 row_shr:2 row_mask:0xf bank_mask:0xf
	v_cndmask_b32_e32 v9, 0, v10, vcc
	v_add_u32_e32 v6, v6, v9
	ds_write_b32 v3, v6
.LBB66_6:
	s_or_b64 exec, exec, s[0:1]
	v_cmp_lt_u32_e32 vcc, 63, v2
	v_mov_b32_e32 v2, 0
	s_waitcnt lgkmcnt(0)
	s_barrier
	s_and_saveexec_b64 s[0:1], vcc
	s_cbranch_execz .LBB66_8
; %bb.7:
	v_lshl_add_u32 v1, v1, 2, -4
	ds_read_b32 v2, v1
.LBB66_8:
	s_or_b64 exec, exec, s[0:1]
	v_add_u32_e32 v1, -1, v4
	v_and_b32_e32 v6, 64, v4
	v_cmp_lt_i32_e32 vcc, v1, v6
	v_cndmask_b32_e32 v1, v1, v4, vcc
	s_waitcnt lgkmcnt(0)
	v_add_u32_e32 v0, v2, v0
	v_lshlrev_b32_e32 v1, 2, v1
	ds_bpermute_b32 v0, v1, v0
	v_cmp_eq_u32_e32 vcc, 0, v4
	s_add_u32 s0, s2, s6
	s_addc_u32 s1, s3, s7
	s_waitcnt lgkmcnt(0)
	v_cndmask_b32_e32 v0, v0, v2, vcc
	ds_write_b32 v3, v0 offset:12
	s_waitcnt lgkmcnt(0)
	s_barrier
	ds_read_b32 v0, v7 offset:12
	s_waitcnt lgkmcnt(0)
	s_barrier
	v_add_u32_e32 v0, v0, v8
	ds_write_b32 v5, v0
	; wave barrier
	ds_read_b32 v0, v5
	s_waitcnt lgkmcnt(0)
	global_store_dword v3, v0, s[0:1]
	s_endpgm
	.section	.rodata,"a",@progbits
	.p2align	6, 0x0
	.amdhsa_kernel _Z11rank_kernelILj162ELj1ELj4ELb0EL18RadixRankAlgorithm2EjEvPKT4_Pijj
		.amdhsa_group_segment_fixed_size 672
		.amdhsa_private_segment_fixed_size 0
		.amdhsa_kernarg_size 280
		.amdhsa_user_sgpr_count 6
		.amdhsa_user_sgpr_private_segment_buffer 1
		.amdhsa_user_sgpr_dispatch_ptr 0
		.amdhsa_user_sgpr_queue_ptr 0
		.amdhsa_user_sgpr_kernarg_segment_ptr 1
		.amdhsa_user_sgpr_dispatch_id 0
		.amdhsa_user_sgpr_flat_scratch_init 0
		.amdhsa_user_sgpr_kernarg_preload_length 0
		.amdhsa_user_sgpr_kernarg_preload_offset 0
		.amdhsa_user_sgpr_private_segment_size 0
		.amdhsa_uses_dynamic_stack 0
		.amdhsa_system_sgpr_private_segment_wavefront_offset 0
		.amdhsa_system_sgpr_workgroup_id_x 1
		.amdhsa_system_sgpr_workgroup_id_y 0
		.amdhsa_system_sgpr_workgroup_id_z 0
		.amdhsa_system_sgpr_workgroup_info 0
		.amdhsa_system_vgpr_workitem_id 2
		.amdhsa_next_free_vgpr 13
		.amdhsa_next_free_sgpr 10
		.amdhsa_accum_offset 16
		.amdhsa_reserve_vcc 1
		.amdhsa_reserve_flat_scratch 0
		.amdhsa_float_round_mode_32 0
		.amdhsa_float_round_mode_16_64 0
		.amdhsa_float_denorm_mode_32 3
		.amdhsa_float_denorm_mode_16_64 3
		.amdhsa_dx10_clamp 1
		.amdhsa_ieee_mode 1
		.amdhsa_fp16_overflow 0
		.amdhsa_tg_split 0
		.amdhsa_exception_fp_ieee_invalid_op 0
		.amdhsa_exception_fp_denorm_src 0
		.amdhsa_exception_fp_ieee_div_zero 0
		.amdhsa_exception_fp_ieee_overflow 0
		.amdhsa_exception_fp_ieee_underflow 0
		.amdhsa_exception_fp_ieee_inexact 0
		.amdhsa_exception_int_div_zero 0
	.end_amdhsa_kernel
	.section	.text._Z11rank_kernelILj162ELj1ELj4ELb0EL18RadixRankAlgorithm2EjEvPKT4_Pijj,"axG",@progbits,_Z11rank_kernelILj162ELj1ELj4ELb0EL18RadixRankAlgorithm2EjEvPKT4_Pijj,comdat
.Lfunc_end66:
	.size	_Z11rank_kernelILj162ELj1ELj4ELb0EL18RadixRankAlgorithm2EjEvPKT4_Pijj, .Lfunc_end66-_Z11rank_kernelILj162ELj1ELj4ELb0EL18RadixRankAlgorithm2EjEvPKT4_Pijj
                                        ; -- End function
	.section	.AMDGPU.csdata,"",@progbits
; Kernel info:
; codeLenInByte = 936
; NumSgprs: 14
; NumVgprs: 13
; NumAgprs: 0
; TotalNumVgprs: 13
; ScratchSize: 0
; MemoryBound: 0
; FloatMode: 240
; IeeeMode: 1
; LDSByteSize: 672 bytes/workgroup (compile time only)
; SGPRBlocks: 1
; VGPRBlocks: 1
; NumSGPRsForWavesPerEU: 14
; NumVGPRsForWavesPerEU: 13
; AccumOffset: 16
; Occupancy: 8
; WaveLimiterHint : 0
; COMPUTE_PGM_RSRC2:SCRATCH_EN: 0
; COMPUTE_PGM_RSRC2:USER_SGPR: 6
; COMPUTE_PGM_RSRC2:TRAP_HANDLER: 0
; COMPUTE_PGM_RSRC2:TGID_X_EN: 1
; COMPUTE_PGM_RSRC2:TGID_Y_EN: 0
; COMPUTE_PGM_RSRC2:TGID_Z_EN: 0
; COMPUTE_PGM_RSRC2:TIDIG_COMP_CNT: 2
; COMPUTE_PGM_RSRC3_GFX90A:ACCUM_OFFSET: 3
; COMPUTE_PGM_RSRC3_GFX90A:TG_SPLIT: 0
	.section	.text._Z11rank_kernelILj510ELj1ELj4ELb1EL18RadixRankAlgorithm2ExEvPKT4_Pijj,"axG",@progbits,_Z11rank_kernelILj510ELj1ELj4ELb1EL18RadixRankAlgorithm2ExEvPKT4_Pijj,comdat
	.protected	_Z11rank_kernelILj510ELj1ELj4ELb1EL18RadixRankAlgorithm2ExEvPKT4_Pijj ; -- Begin function _Z11rank_kernelILj510ELj1ELj4ELb1EL18RadixRankAlgorithm2ExEvPKT4_Pijj
	.globl	_Z11rank_kernelILj510ELj1ELj4ELb1EL18RadixRankAlgorithm2ExEvPKT4_Pijj
	.p2align	8
	.type	_Z11rank_kernelILj510ELj1ELj4ELb1EL18RadixRankAlgorithm2ExEvPKT4_Pijj,@function
_Z11rank_kernelILj510ELj1ELj4ELb1EL18RadixRankAlgorithm2ExEvPKT4_Pijj: ; @_Z11rank_kernelILj510ELj1ELj4ELb1EL18RadixRankAlgorithm2ExEvPKT4_Pijj
; %bb.0:
	s_load_dwordx4 s[0:3], s[4:5], 0x0
	s_load_dwordx2 s[8:9], s[4:5], 0x10
	s_mulk_i32 s6, 0x1fe
	s_mov_b32 s7, 0
	s_lshl_b64 s[10:11], s[6:7], 3
	v_and_b32_e32 v2, 0x3ff, v0
	s_waitcnt lgkmcnt(0)
	s_add_u32 s0, s0, s10
	s_addc_u32 s1, s1, s11
	v_lshlrev_b32_e32 v1, 3, v2
	global_load_dwordx2 v[10:11], v1, s[0:1]
	s_load_dword s0, s[4:5], 0x24
	v_mbcnt_lo_u32_b32 v1, -1, 0
	v_mbcnt_hi_u32_b32 v4, -1, v1
	v_and_b32_e32 v7, 0x1c0, v2
	v_add_u32_e32 v5, v4, v7
	v_bfe_u32 v1, v0, 20, 10
	v_bfe_u32 v6, v0, 10, 10
	v_lshlrev_b32_e32 v0, 3, v5
	s_waitcnt lgkmcnt(0)
	s_lshr_b32 s1, s0, 16
	v_mul_u32_u24_e32 v8, s1, v1
	s_and_b32 s1, s9, 63
	v_mov_b32_e32 v9, 0
	v_lshlrev_b32_e32 v3, 2, v2
	s_cmp_eq_u32 s1, 0
	s_waitcnt vmcnt(0)
	ds_write_b64 v0, v[10:11]
	; wave barrier
	ds_read_b64 v[0:1], v0
	s_waitcnt lgkmcnt(0)
	s_barrier
	ds_write_b32 v3, v9 offset:32
	s_waitcnt lgkmcnt(0)
	s_barrier
	s_cbranch_scc1 .LBB67_2
; %bb.1:
	s_and_b32 s4, s8, 63
	s_add_i32 s4, s4, s1
	v_xor_b32_e32 v1, 0x80000000, v1
	s_sub_i32 s4, 64, s4
	v_lshlrev_b64 v[0:1], s4, v[0:1]
	s_sub_i32 s1, 64, s1
	v_lshrrev_b64 v[0:1], s1, v[0:1]
	v_xor_b32_e32 v0, 15, v0
	s_branch .LBB67_3
.LBB67_2:
	v_mov_b32_e32 v0, 15
.LBB67_3:
	s_and_b32 s0, s0, 0xffff
	v_add_u32_e32 v1, v8, v6
	v_mad_u64_u32 v[8:9], s[0:1], v1, s0, v[2:3]
	v_lshrrev_b32_e32 v1, 6, v8
	v_lshl_add_u32 v6, v0, 3, v0
	v_add_lshl_u32 v6, v6, v1, 2
	v_and_b32_e32 v1, 1, v0
	v_add_co_u32_e32 v9, vcc, -1, v1
	v_addc_co_u32_e64 v10, s[0:1], 0, -1, vcc
	v_cmp_ne_u32_e32 vcc, 0, v1
	v_xor_b32_e32 v9, vcc_lo, v9
	v_mov_b32_e32 v8, 0
	v_xor_b32_e32 v1, vcc_hi, v10
	v_and_b32_e32 v10, exec_lo, v9
	v_lshlrev_b32_e32 v9, 30, v0
	v_cmp_gt_i64_e32 vcc, 0, v[8:9]
	v_not_b32_e32 v9, v9
	v_ashrrev_i32_e32 v9, 31, v9
	v_xor_b32_e32 v11, vcc_hi, v9
	v_xor_b32_e32 v9, vcc_lo, v9
	v_and_b32_e32 v10, v10, v9
	v_lshlrev_b32_e32 v9, 29, v0
	v_cmp_gt_i64_e32 vcc, 0, v[8:9]
	v_not_b32_e32 v9, v9
	v_and_b32_e32 v1, exec_hi, v1
	v_ashrrev_i32_e32 v9, 31, v9
	v_and_b32_e32 v1, v1, v11
	v_xor_b32_e32 v11, vcc_hi, v9
	v_xor_b32_e32 v9, vcc_lo, v9
	v_and_b32_e32 v10, v10, v9
	v_lshlrev_b32_e32 v9, 28, v0
	v_not_b32_e32 v0, v9
	v_cmp_gt_i64_e32 vcc, 0, v[8:9]
	v_ashrrev_i32_e32 v0, 31, v0
	v_xor_b32_e32 v8, vcc_hi, v0
	v_xor_b32_e32 v0, vcc_lo, v0
	v_and_b32_e32 v1, v1, v11
	v_and_b32_e32 v0, v10, v0
	;; [unrolled: 1-line block ×3, first 2 shown]
	v_mbcnt_lo_u32_b32 v8, v0, 0
	v_mbcnt_hi_u32_b32 v8, v1, v8
	v_cmp_eq_u32_e32 vcc, 0, v8
	v_cmp_ne_u64_e64 s[0:1], 0, v[0:1]
	s_and_b64 s[4:5], s[0:1], vcc
	; wave barrier
	s_and_saveexec_b64 s[0:1], s[4:5]
	s_cbranch_execz .LBB67_5
; %bb.4:
	v_bcnt_u32_b32 v0, v0, 0
	v_bcnt_u32_b32 v0, v1, v0
	ds_write_b32 v6, v0 offset:32
.LBB67_5:
	s_or_b64 exec, exec, s[0:1]
	; wave barrier
	s_waitcnt lgkmcnt(0)
	s_barrier
	ds_read_b32 v0, v3 offset:32
	v_and_b32_e32 v1, 15, v4
	v_cmp_ne_u32_e32 vcc, 0, v1
	v_min_u32_e32 v7, 0x1be, v7
	v_add_u32_e32 v7, 63, v7
	s_waitcnt lgkmcnt(0)
	v_mov_b32_dpp v9, v0 row_shr:1 row_mask:0xf bank_mask:0xf
	v_cndmask_b32_e32 v9, 0, v9, vcc
	v_add_u32_e32 v0, v9, v0
	v_cmp_lt_u32_e32 vcc, 1, v1
	s_nop 0
	v_mov_b32_dpp v9, v0 row_shr:2 row_mask:0xf bank_mask:0xf
	v_cndmask_b32_e32 v9, 0, v9, vcc
	v_add_u32_e32 v0, v0, v9
	v_cmp_lt_u32_e32 vcc, 3, v1
	s_nop 0
	;; [unrolled: 5-line block ×3, first 2 shown]
	v_mov_b32_dpp v9, v0 row_shr:8 row_mask:0xf bank_mask:0xf
	v_cndmask_b32_e32 v1, 0, v9, vcc
	v_add_u32_e32 v0, v0, v1
	v_bfe_i32 v9, v4, 4, 1
	v_cmp_lt_u32_e32 vcc, 31, v4
	v_mov_b32_dpp v1, v0 row_bcast:15 row_mask:0xf bank_mask:0xf
	v_and_b32_e32 v1, v9, v1
	v_add_u32_e32 v0, v0, v1
	s_nop 1
	v_mov_b32_dpp v1, v0 row_bcast:31 row_mask:0xf bank_mask:0xf
	v_cndmask_b32_e32 v1, 0, v1, vcc
	v_add_u32_e32 v0, v0, v1
	v_lshrrev_b32_e32 v1, 6, v2
	v_cmp_eq_u32_e32 vcc, v7, v2
	s_and_saveexec_b64 s[0:1], vcc
	s_cbranch_execz .LBB67_7
; %bb.6:
	v_lshlrev_b32_e32 v7, 2, v1
	ds_write_b32 v7, v0
.LBB67_7:
	s_or_b64 exec, exec, s[0:1]
	v_cmp_gt_u32_e32 vcc, 8, v2
	s_waitcnt lgkmcnt(0)
	s_barrier
	s_and_saveexec_b64 s[0:1], vcc
	s_cbranch_execz .LBB67_9
; %bb.8:
	ds_read_b32 v7, v3
	v_and_b32_e32 v9, 7, v4
	v_cmp_ne_u32_e32 vcc, 0, v9
	s_waitcnt lgkmcnt(0)
	v_mov_b32_dpp v10, v7 row_shr:1 row_mask:0xf bank_mask:0xf
	v_cndmask_b32_e32 v10, 0, v10, vcc
	v_add_u32_e32 v7, v10, v7
	v_cmp_lt_u32_e32 vcc, 1, v9
	s_nop 0
	v_mov_b32_dpp v10, v7 row_shr:2 row_mask:0xf bank_mask:0xf
	v_cndmask_b32_e32 v10, 0, v10, vcc
	v_add_u32_e32 v7, v7, v10
	v_cmp_lt_u32_e32 vcc, 3, v9
	s_nop 0
	v_mov_b32_dpp v10, v7 row_shr:4 row_mask:0xf bank_mask:0xf
	v_cndmask_b32_e32 v9, 0, v10, vcc
	v_add_u32_e32 v7, v7, v9
	ds_write_b32 v3, v7
.LBB67_9:
	s_or_b64 exec, exec, s[0:1]
	v_cmp_lt_u32_e32 vcc, 63, v2
	v_mov_b32_e32 v2, 0
	s_waitcnt lgkmcnt(0)
	s_barrier
	s_and_saveexec_b64 s[0:1], vcc
	s_cbranch_execz .LBB67_11
; %bb.10:
	v_lshl_add_u32 v1, v1, 2, -4
	ds_read_b32 v2, v1
.LBB67_11:
	s_or_b64 exec, exec, s[0:1]
	v_add_u32_e32 v1, -1, v4
	v_and_b32_e32 v7, 64, v4
	v_cmp_lt_i32_e32 vcc, v1, v7
	v_cndmask_b32_e32 v1, v1, v4, vcc
	s_waitcnt lgkmcnt(0)
	v_add_u32_e32 v0, v2, v0
	v_lshlrev_b32_e32 v1, 2, v1
	ds_bpermute_b32 v0, v1, v0
	v_cmp_eq_u32_e32 vcc, 0, v4
	v_lshlrev_b32_e32 v1, 2, v5
	s_lshl_b64 s[0:1], s[6:7], 2
	s_add_u32 s0, s2, s0
	s_waitcnt lgkmcnt(0)
	v_cndmask_b32_e32 v0, v0, v2, vcc
	ds_write_b32 v3, v0 offset:32
	s_waitcnt lgkmcnt(0)
	s_barrier
	ds_read_b32 v0, v6 offset:32
	s_waitcnt lgkmcnt(0)
	s_barrier
	s_addc_u32 s1, s3, s1
	v_add_u32_e32 v0, v0, v8
	ds_write_b32 v1, v0
	; wave barrier
	ds_read_b32 v0, v1
	s_waitcnt lgkmcnt(0)
	global_store_dword v3, v0, s[0:1]
	s_endpgm
	.section	.rodata,"a",@progbits
	.p2align	6, 0x0
	.amdhsa_kernel _Z11rank_kernelILj510ELj1ELj4ELb1EL18RadixRankAlgorithm2ExEvPKT4_Pijj
		.amdhsa_group_segment_fixed_size 4080
		.amdhsa_private_segment_fixed_size 0
		.amdhsa_kernarg_size 280
		.amdhsa_user_sgpr_count 6
		.amdhsa_user_sgpr_private_segment_buffer 1
		.amdhsa_user_sgpr_dispatch_ptr 0
		.amdhsa_user_sgpr_queue_ptr 0
		.amdhsa_user_sgpr_kernarg_segment_ptr 1
		.amdhsa_user_sgpr_dispatch_id 0
		.amdhsa_user_sgpr_flat_scratch_init 0
		.amdhsa_user_sgpr_kernarg_preload_length 0
		.amdhsa_user_sgpr_kernarg_preload_offset 0
		.amdhsa_user_sgpr_private_segment_size 0
		.amdhsa_uses_dynamic_stack 0
		.amdhsa_system_sgpr_private_segment_wavefront_offset 0
		.amdhsa_system_sgpr_workgroup_id_x 1
		.amdhsa_system_sgpr_workgroup_id_y 0
		.amdhsa_system_sgpr_workgroup_id_z 0
		.amdhsa_system_sgpr_workgroup_info 0
		.amdhsa_system_vgpr_workitem_id 2
		.amdhsa_next_free_vgpr 12
		.amdhsa_next_free_sgpr 12
		.amdhsa_accum_offset 12
		.amdhsa_reserve_vcc 1
		.amdhsa_reserve_flat_scratch 0
		.amdhsa_float_round_mode_32 0
		.amdhsa_float_round_mode_16_64 0
		.amdhsa_float_denorm_mode_32 3
		.amdhsa_float_denorm_mode_16_64 3
		.amdhsa_dx10_clamp 1
		.amdhsa_ieee_mode 1
		.amdhsa_fp16_overflow 0
		.amdhsa_tg_split 0
		.amdhsa_exception_fp_ieee_invalid_op 0
		.amdhsa_exception_fp_denorm_src 0
		.amdhsa_exception_fp_ieee_div_zero 0
		.amdhsa_exception_fp_ieee_overflow 0
		.amdhsa_exception_fp_ieee_underflow 0
		.amdhsa_exception_fp_ieee_inexact 0
		.amdhsa_exception_int_div_zero 0
	.end_amdhsa_kernel
	.section	.text._Z11rank_kernelILj510ELj1ELj4ELb1EL18RadixRankAlgorithm2ExEvPKT4_Pijj,"axG",@progbits,_Z11rank_kernelILj510ELj1ELj4ELb1EL18RadixRankAlgorithm2ExEvPKT4_Pijj,comdat
.Lfunc_end67:
	.size	_Z11rank_kernelILj510ELj1ELj4ELb1EL18RadixRankAlgorithm2ExEvPKT4_Pijj, .Lfunc_end67-_Z11rank_kernelILj510ELj1ELj4ELb1EL18RadixRankAlgorithm2ExEvPKT4_Pijj
                                        ; -- End function
	.section	.AMDGPU.csdata,"",@progbits
; Kernel info:
; codeLenInByte = 988
; NumSgprs: 16
; NumVgprs: 12
; NumAgprs: 0
; TotalNumVgprs: 12
; ScratchSize: 0
; MemoryBound: 0
; FloatMode: 240
; IeeeMode: 1
; LDSByteSize: 4080 bytes/workgroup (compile time only)
; SGPRBlocks: 1
; VGPRBlocks: 1
; NumSGPRsForWavesPerEU: 16
; NumVGPRsForWavesPerEU: 12
; AccumOffset: 12
; Occupancy: 8
; WaveLimiterHint : 0
; COMPUTE_PGM_RSRC2:SCRATCH_EN: 0
; COMPUTE_PGM_RSRC2:USER_SGPR: 6
; COMPUTE_PGM_RSRC2:TRAP_HANDLER: 0
; COMPUTE_PGM_RSRC2:TGID_X_EN: 1
; COMPUTE_PGM_RSRC2:TGID_Y_EN: 0
; COMPUTE_PGM_RSRC2:TGID_Z_EN: 0
; COMPUTE_PGM_RSRC2:TIDIG_COMP_CNT: 2
; COMPUTE_PGM_RSRC3_GFX90A:ACCUM_OFFSET: 2
; COMPUTE_PGM_RSRC3_GFX90A:TG_SPLIT: 0
	.section	.text._Z11rank_kernelILj37ELj1ELj4ELb0EL18RadixRankAlgorithm2EfEvPKT4_Pijj,"axG",@progbits,_Z11rank_kernelILj37ELj1ELj4ELb0EL18RadixRankAlgorithm2EfEvPKT4_Pijj,comdat
	.protected	_Z11rank_kernelILj37ELj1ELj4ELb0EL18RadixRankAlgorithm2EfEvPKT4_Pijj ; -- Begin function _Z11rank_kernelILj37ELj1ELj4ELb0EL18RadixRankAlgorithm2EfEvPKT4_Pijj
	.globl	_Z11rank_kernelILj37ELj1ELj4ELb0EL18RadixRankAlgorithm2EfEvPKT4_Pijj
	.p2align	8
	.type	_Z11rank_kernelILj37ELj1ELj4ELb0EL18RadixRankAlgorithm2EfEvPKT4_Pijj,@function
_Z11rank_kernelILj37ELj1ELj4ELb0EL18RadixRankAlgorithm2EfEvPKT4_Pijj: ; @_Z11rank_kernelILj37ELj1ELj4ELb0EL18RadixRankAlgorithm2EfEvPKT4_Pijj
; %bb.0:
	s_load_dwordx4 s[0:3], s[4:5], 0x0
	s_load_dwordx2 s[8:9], s[4:5], 0x10
	s_mul_i32 s6, s6, 37
	s_mov_b32 s7, 0
	s_lshl_b64 s[6:7], s[6:7], 2
	s_waitcnt lgkmcnt(0)
	s_add_u32 s0, s0, s6
	v_and_b32_e32 v2, 0x3ff, v0
	s_addc_u32 s1, s1, s7
	v_lshlrev_b32_e32 v3, 2, v2
	global_load_dword v6, v3, s[0:1]
	s_load_dword s0, s[4:5], 0x24
	v_mbcnt_lo_u32_b32 v1, -1, 0
	v_mbcnt_hi_u32_b32 v5, -1, v1
	v_bfe_u32 v1, v0, 10, 10
	v_bfe_u32 v0, v0, 20, 10
	s_waitcnt lgkmcnt(0)
	s_lshr_b32 s1, s0, 16
	s_and_b32 s0, s0, 0xffff
	v_mad_u32_u24 v0, v0, s1, v1
	v_lshlrev_b32_e32 v4, 2, v5
	v_mad_u64_u32 v[0:1], s[0:1], v0, s0, v[2:3]
	v_bfrev_b32_e32 v7, 1
	s_brev_b32 s10, -2
	s_and_b32 s4, s9, 31
	s_and_b32 s5, s8, 31
	s_add_i32 s5, s5, s4
	s_sub_i32 s8, 32, s4
	s_sub_i32 s0, 32, s5
	s_cmp_lg_u32 s4, 0
	v_lshrrev_b32_e32 v0, 6, v0
	v_mov_b32_e32 v8, 0
	s_waitcnt vmcnt(0)
	ds_write_b32 v4, v6
	; wave barrier
	ds_read_b32 v1, v4
	s_waitcnt lgkmcnt(0)
	; wave barrier
	s_waitcnt lgkmcnt(0)
	ds_write_b32 v3, v8 offset:4
	s_waitcnt lgkmcnt(0)
	v_cmp_lt_i32_e32 vcc, -1, v1
	v_cndmask_b32_e32 v6, -1, v7, vcc
	v_xor_b32_e32 v1, v6, v1
	v_cmp_ne_u32_e32 vcc, s10, v1
	v_cndmask_b32_e32 v1, v7, v1, vcc
	v_lshlrev_b32_e32 v1, s0, v1
	v_lshrrev_b32_e32 v1, s8, v1
	s_cselect_b64 vcc, -1, 0
	v_cndmask_b32_e32 v1, 0, v1, vcc
	v_add_lshl_u32 v6, v0, v1, 2
	v_and_b32_e32 v0, 1, v1
	v_add_co_u32_e32 v7, vcc, -1, v0
	v_lshlrev_b32_e32 v9, 30, v1
	v_addc_co_u32_e64 v10, s[0:1], 0, -1, vcc
	v_cmp_ne_u32_e32 vcc, 0, v0
	v_cmp_gt_i64_e64 s[0:1], 0, v[8:9]
	v_not_b32_e32 v0, v9
	v_lshlrev_b32_e32 v9, 29, v1
	v_xor_b32_e32 v10, vcc_hi, v10
	v_xor_b32_e32 v7, vcc_lo, v7
	v_ashrrev_i32_e32 v0, 31, v0
	v_cmp_gt_i64_e32 vcc, 0, v[8:9]
	v_not_b32_e32 v11, v9
	v_lshlrev_b32_e32 v9, 28, v1
	v_and_b32_e32 v1, exec_hi, v10
	v_and_b32_e32 v7, exec_lo, v7
	v_xor_b32_e32 v10, s1, v0
	v_xor_b32_e32 v0, s0, v0
	v_ashrrev_i32_e32 v11, 31, v11
	v_cmp_gt_i64_e64 s[0:1], 0, v[8:9]
	v_not_b32_e32 v8, v9
	v_and_b32_e32 v1, v1, v10
	v_and_b32_e32 v0, v7, v0
	v_xor_b32_e32 v7, vcc_hi, v11
	v_xor_b32_e32 v9, vcc_lo, v11
	v_ashrrev_i32_e32 v8, 31, v8
	v_and_b32_e32 v1, v1, v7
	v_and_b32_e32 v0, v0, v9
	v_xor_b32_e32 v7, s1, v8
	v_xor_b32_e32 v8, s0, v8
	v_and_b32_e32 v0, v0, v8
	v_and_b32_e32 v1, v1, v7
	v_mbcnt_lo_u32_b32 v7, v0, 0
	v_mbcnt_hi_u32_b32 v7, v1, v7
	v_cmp_eq_u32_e32 vcc, 0, v7
	v_cmp_ne_u64_e64 s[0:1], 0, v[0:1]
	s_and_b64 s[4:5], s[0:1], vcc
	; wave barrier
	s_waitcnt lgkmcnt(0)
	; wave barrier
	s_and_saveexec_b64 s[0:1], s[4:5]
	s_cbranch_execz .LBB68_2
; %bb.1:
	v_bcnt_u32_b32 v0, v0, 0
	v_bcnt_u32_b32 v0, v1, v0
	ds_write_b32 v6, v0 offset:4
.LBB68_2:
	s_or_b64 exec, exec, s[0:1]
	; wave barrier
	s_waitcnt lgkmcnt(0)
	; wave barrier
	s_waitcnt lgkmcnt(0)
	ds_read_b32 v0, v3 offset:4
	v_and_b32_e32 v1, 15, v5
	v_cmp_ne_u32_e32 vcc, 0, v1
	s_waitcnt lgkmcnt(0)
	v_mov_b32_dpp v8, v0 row_shr:1 row_mask:0xf bank_mask:0xf
	v_cndmask_b32_e32 v8, 0, v8, vcc
	v_add_u32_e32 v0, v8, v0
	v_cmp_lt_u32_e32 vcc, 1, v1
	s_nop 0
	v_mov_b32_dpp v8, v0 row_shr:2 row_mask:0xf bank_mask:0xf
	v_cndmask_b32_e32 v8, 0, v8, vcc
	v_add_u32_e32 v0, v0, v8
	v_cmp_lt_u32_e32 vcc, 3, v1
	s_nop 0
	v_mov_b32_dpp v8, v0 row_shr:4 row_mask:0xf bank_mask:0xf
	v_cndmask_b32_e32 v8, 0, v8, vcc
	v_add_u32_e32 v0, v0, v8
	v_cmp_lt_u32_e32 vcc, 7, v1
	s_nop 0
	v_mov_b32_dpp v8, v0 row_shr:8 row_mask:0xf bank_mask:0xf
	v_cndmask_b32_e32 v1, 0, v8, vcc
	v_add_u32_e32 v0, v0, v1
	v_bfe_i32 v8, v5, 4, 1
	v_cmp_lt_u32_e32 vcc, 31, v5
	v_mov_b32_dpp v1, v0 row_bcast:15 row_mask:0xf bank_mask:0xf
	v_and_b32_e32 v1, v8, v1
	v_add_u32_e32 v0, v0, v1
	s_nop 1
	v_mov_b32_dpp v1, v0 row_bcast:31 row_mask:0xf bank_mask:0xf
	v_cndmask_b32_e32 v1, 0, v1, vcc
	v_add_u32_e32 v0, v0, v1
	v_cmp_eq_u32_e32 vcc, 36, v2
	s_and_saveexec_b64 s[0:1], vcc
	s_cbranch_execz .LBB68_4
; %bb.3:
	v_mov_b32_e32 v1, 0
	ds_write_b32 v1, v0
.LBB68_4:
	s_or_b64 exec, exec, s[0:1]
	v_add_u32_e32 v1, -1, v5
	v_and_b32_e32 v2, 64, v5
	v_cmp_lt_i32_e32 vcc, v1, v2
	v_cndmask_b32_e32 v1, v1, v5, vcc
	v_lshlrev_b32_e32 v1, 2, v1
	ds_bpermute_b32 v0, v1, v0
	v_cmp_ne_u32_e32 vcc, 0, v5
	s_waitcnt lgkmcnt(0)
	; wave barrier
	s_waitcnt lgkmcnt(0)
	s_add_u32 s0, s2, s6
	v_cndmask_b32_e32 v0, 0, v0, vcc
	ds_write_b32 v3, v0 offset:4
	s_waitcnt lgkmcnt(0)
	; wave barrier
	s_waitcnt lgkmcnt(0)
	ds_read_b32 v0, v6 offset:4
	s_waitcnt lgkmcnt(0)
	; wave barrier
	s_waitcnt lgkmcnt(0)
	s_addc_u32 s1, s3, s7
	v_add_u32_e32 v0, v0, v7
	ds_write_b32 v4, v0
	; wave barrier
	ds_read_b32 v0, v4
	s_waitcnt lgkmcnt(0)
	global_store_dword v3, v0, s[0:1]
	s_endpgm
	.section	.rodata,"a",@progbits
	.p2align	6, 0x0
	.amdhsa_kernel _Z11rank_kernelILj37ELj1ELj4ELb0EL18RadixRankAlgorithm2EfEvPKT4_Pijj
		.amdhsa_group_segment_fixed_size 160
		.amdhsa_private_segment_fixed_size 0
		.amdhsa_kernarg_size 280
		.amdhsa_user_sgpr_count 6
		.amdhsa_user_sgpr_private_segment_buffer 1
		.amdhsa_user_sgpr_dispatch_ptr 0
		.amdhsa_user_sgpr_queue_ptr 0
		.amdhsa_user_sgpr_kernarg_segment_ptr 1
		.amdhsa_user_sgpr_dispatch_id 0
		.amdhsa_user_sgpr_flat_scratch_init 0
		.amdhsa_user_sgpr_kernarg_preload_length 0
		.amdhsa_user_sgpr_kernarg_preload_offset 0
		.amdhsa_user_sgpr_private_segment_size 0
		.amdhsa_uses_dynamic_stack 0
		.amdhsa_system_sgpr_private_segment_wavefront_offset 0
		.amdhsa_system_sgpr_workgroup_id_x 1
		.amdhsa_system_sgpr_workgroup_id_y 0
		.amdhsa_system_sgpr_workgroup_id_z 0
		.amdhsa_system_sgpr_workgroup_info 0
		.amdhsa_system_vgpr_workitem_id 2
		.amdhsa_next_free_vgpr 12
		.amdhsa_next_free_sgpr 11
		.amdhsa_accum_offset 12
		.amdhsa_reserve_vcc 1
		.amdhsa_reserve_flat_scratch 0
		.amdhsa_float_round_mode_32 0
		.amdhsa_float_round_mode_16_64 0
		.amdhsa_float_denorm_mode_32 3
		.amdhsa_float_denorm_mode_16_64 3
		.amdhsa_dx10_clamp 1
		.amdhsa_ieee_mode 1
		.amdhsa_fp16_overflow 0
		.amdhsa_tg_split 0
		.amdhsa_exception_fp_ieee_invalid_op 0
		.amdhsa_exception_fp_denorm_src 0
		.amdhsa_exception_fp_ieee_div_zero 0
		.amdhsa_exception_fp_ieee_overflow 0
		.amdhsa_exception_fp_ieee_underflow 0
		.amdhsa_exception_fp_ieee_inexact 0
		.amdhsa_exception_int_div_zero 0
	.end_amdhsa_kernel
	.section	.text._Z11rank_kernelILj37ELj1ELj4ELb0EL18RadixRankAlgorithm2EfEvPKT4_Pijj,"axG",@progbits,_Z11rank_kernelILj37ELj1ELj4ELb0EL18RadixRankAlgorithm2EfEvPKT4_Pijj,comdat
.Lfunc_end68:
	.size	_Z11rank_kernelILj37ELj1ELj4ELb0EL18RadixRankAlgorithm2EfEvPKT4_Pijj, .Lfunc_end68-_Z11rank_kernelILj37ELj1ELj4ELb0EL18RadixRankAlgorithm2EfEvPKT4_Pijj
                                        ; -- End function
	.section	.AMDGPU.csdata,"",@progbits
; Kernel info:
; codeLenInByte = 784
; NumSgprs: 15
; NumVgprs: 12
; NumAgprs: 0
; TotalNumVgprs: 12
; ScratchSize: 0
; MemoryBound: 0
; FloatMode: 240
; IeeeMode: 1
; LDSByteSize: 160 bytes/workgroup (compile time only)
; SGPRBlocks: 1
; VGPRBlocks: 1
; NumSGPRsForWavesPerEU: 15
; NumVGPRsForWavesPerEU: 12
; AccumOffset: 12
; Occupancy: 8
; WaveLimiterHint : 0
; COMPUTE_PGM_RSRC2:SCRATCH_EN: 0
; COMPUTE_PGM_RSRC2:USER_SGPR: 6
; COMPUTE_PGM_RSRC2:TRAP_HANDLER: 0
; COMPUTE_PGM_RSRC2:TGID_X_EN: 1
; COMPUTE_PGM_RSRC2:TGID_Y_EN: 0
; COMPUTE_PGM_RSRC2:TGID_Z_EN: 0
; COMPUTE_PGM_RSRC2:TIDIG_COMP_CNT: 2
; COMPUTE_PGM_RSRC3_GFX90A:ACCUM_OFFSET: 2
; COMPUTE_PGM_RSRC3_GFX90A:TG_SPLIT: 0
	.section	.text._Z11rank_kernelILj65ELj1ELj4ELb0EL18RadixRankAlgorithm2EdEvPKT4_Pijj,"axG",@progbits,_Z11rank_kernelILj65ELj1ELj4ELb0EL18RadixRankAlgorithm2EdEvPKT4_Pijj,comdat
	.protected	_Z11rank_kernelILj65ELj1ELj4ELb0EL18RadixRankAlgorithm2EdEvPKT4_Pijj ; -- Begin function _Z11rank_kernelILj65ELj1ELj4ELb0EL18RadixRankAlgorithm2EdEvPKT4_Pijj
	.globl	_Z11rank_kernelILj65ELj1ELj4ELb0EL18RadixRankAlgorithm2EdEvPKT4_Pijj
	.p2align	8
	.type	_Z11rank_kernelILj65ELj1ELj4ELb0EL18RadixRankAlgorithm2EdEvPKT4_Pijj,@function
_Z11rank_kernelILj65ELj1ELj4ELb0EL18RadixRankAlgorithm2EdEvPKT4_Pijj: ; @_Z11rank_kernelILj65ELj1ELj4ELb0EL18RadixRankAlgorithm2EdEvPKT4_Pijj
; %bb.0:
	s_load_dwordx4 s[0:3], s[4:5], 0x0
	s_load_dwordx2 s[8:9], s[4:5], 0x10
	s_mulk_i32 s6, 0x41
	s_mov_b32 s7, 0
	s_lshl_b64 s[10:11], s[6:7], 3
	v_and_b32_e32 v2, 0x3ff, v0
	s_waitcnt lgkmcnt(0)
	s_add_u32 s0, s0, s10
	s_addc_u32 s1, s1, s11
	v_lshlrev_b32_e32 v1, 3, v2
	global_load_dwordx2 v[6:7], v1, s[0:1]
	v_mbcnt_lo_u32_b32 v1, -1, 0
	v_mbcnt_hi_u32_b32 v8, -1, v1
	v_bfe_u32 v1, v0, 20, 10
	v_bfe_u32 v5, v0, 10, 10
	v_and_b32_e32 v0, 64, v2
	s_load_dword s4, s[4:5], 0x24
	v_add_u32_e32 v9, v8, v0
	v_lshlrev_b32_e32 v0, 3, v9
	s_and_b32 s5, s9, 63
	v_mov_b32_e32 v4, 0
	s_waitcnt lgkmcnt(0)
	s_lshr_b32 s1, s4, 16
	s_mov_b32 s0, -1
	v_lshlrev_b32_e32 v3, 2, v2
	v_mul_u32_u24_e32 v10, s1, v1
	s_cmp_eq_u32 s5, 0
	s_waitcnt vmcnt(0)
	ds_write_b64 v0, v[6:7]
	; wave barrier
	ds_read_b64 v[6:7], v0
	v_mov_b32_e32 v0, 0
	s_waitcnt lgkmcnt(0)
	s_barrier
	ds_write_b32 v3, v4 offset:8
	s_waitcnt lgkmcnt(0)
	s_barrier
	s_cbranch_scc1 .LBB69_2
; %bb.1:
	v_bfrev_b32_e32 v11, 1
	v_cmp_lt_i64_e32 vcc, -1, v[6:7]
	v_cndmask_b32_e32 v0, -1, v11, vcc
	v_ashrrev_i32_e32 v12, 31, v7
	v_xor_b32_e32 v1, v0, v7
	v_xor_b32_e32 v0, v12, v6
	s_brev_b32 s1, -2
	v_cmp_ne_u64_e32 vcc, s[0:1], v[0:1]
	s_and_b32 s0, s8, 63
	s_add_i32 s0, s0, s5
	v_cndmask_b32_e32 v1, v11, v1, vcc
	v_cndmask_b32_e32 v0, 0, v0, vcc
	s_sub_i32 s0, 64, s0
	v_lshlrev_b64 v[0:1], s0, v[0:1]
	s_sub_i32 s0, 64, s5
	v_lshrrev_b64 v[0:1], s0, v[0:1]
.LBB69_2:
	s_and_b32 s0, s4, 0xffff
	v_add_u32_e32 v1, v10, v5
	v_mad_u64_u32 v[6:7], s[0:1], v1, s0, v[2:3]
	v_lshrrev_b32_e32 v1, 6, v6
	v_lshl_add_u32 v5, v0, 1, v0
	v_add_lshl_u32 v6, v5, v1, 2
	v_and_b32_e32 v1, 1, v0
	v_add_co_u32_e32 v5, vcc, -1, v1
	v_addc_co_u32_e64 v7, s[0:1], 0, -1, vcc
	v_cmp_ne_u32_e32 vcc, 0, v1
	v_xor_b32_e32 v5, vcc_lo, v5
	v_xor_b32_e32 v1, vcc_hi, v7
	v_and_b32_e32 v7, exec_lo, v5
	v_lshlrev_b32_e32 v5, 30, v0
	v_cmp_gt_i64_e32 vcc, 0, v[4:5]
	v_not_b32_e32 v5, v5
	v_ashrrev_i32_e32 v5, 31, v5
	v_xor_b32_e32 v10, vcc_hi, v5
	v_xor_b32_e32 v5, vcc_lo, v5
	v_and_b32_e32 v7, v7, v5
	v_lshlrev_b32_e32 v5, 29, v0
	v_cmp_gt_i64_e32 vcc, 0, v[4:5]
	v_not_b32_e32 v5, v5
	v_and_b32_e32 v1, exec_hi, v1
	v_ashrrev_i32_e32 v5, 31, v5
	v_and_b32_e32 v1, v1, v10
	v_xor_b32_e32 v10, vcc_hi, v5
	v_xor_b32_e32 v5, vcc_lo, v5
	v_and_b32_e32 v7, v7, v5
	v_lshlrev_b32_e32 v5, 28, v0
	v_not_b32_e32 v0, v5
	v_cmp_gt_i64_e32 vcc, 0, v[4:5]
	v_ashrrev_i32_e32 v0, 31, v0
	v_xor_b32_e32 v4, vcc_hi, v0
	v_xor_b32_e32 v0, vcc_lo, v0
	v_and_b32_e32 v1, v1, v10
	v_and_b32_e32 v0, v7, v0
	;; [unrolled: 1-line block ×3, first 2 shown]
	v_mbcnt_lo_u32_b32 v4, v0, 0
	v_mbcnt_hi_u32_b32 v4, v1, v4
	v_cmp_eq_u32_e32 vcc, 0, v4
	v_cmp_ne_u64_e64 s[0:1], 0, v[0:1]
	s_and_b64 s[4:5], s[0:1], vcc
	; wave barrier
	s_and_saveexec_b64 s[0:1], s[4:5]
	s_cbranch_execz .LBB69_4
; %bb.3:
	v_bcnt_u32_b32 v0, v0, 0
	v_bcnt_u32_b32 v0, v1, v0
	ds_write_b32 v6, v0 offset:8
.LBB69_4:
	s_or_b64 exec, exec, s[0:1]
	; wave barrier
	s_waitcnt lgkmcnt(0)
	s_barrier
	ds_read_b32 v0, v3 offset:8
	v_and_b32_e32 v1, 15, v8
	v_cmp_ne_u32_e32 vcc, 0, v1
	v_cmp_gt_u32_e64 s[0:1], 64, v2
	s_waitcnt lgkmcnt(0)
	v_mov_b32_dpp v5, v0 row_shr:1 row_mask:0xf bank_mask:0xf
	v_cndmask_b32_e32 v5, 0, v5, vcc
	v_add_u32_e32 v0, v5, v0
	v_cmp_lt_u32_e32 vcc, 1, v1
	s_nop 0
	v_mov_b32_dpp v5, v0 row_shr:2 row_mask:0xf bank_mask:0xf
	v_cndmask_b32_e32 v5, 0, v5, vcc
	v_add_u32_e32 v0, v0, v5
	v_cmp_lt_u32_e32 vcc, 3, v1
	s_nop 0
	;; [unrolled: 5-line block ×3, first 2 shown]
	v_mov_b32_dpp v5, v0 row_shr:8 row_mask:0xf bank_mask:0xf
	v_cndmask_b32_e32 v1, 0, v5, vcc
	v_add_u32_e32 v0, v0, v1
	v_bfe_i32 v5, v8, 4, 1
	v_cmp_lt_u32_e32 vcc, 31, v8
	v_mov_b32_dpp v1, v0 row_bcast:15 row_mask:0xf bank_mask:0xf
	v_and_b32_e32 v1, v5, v1
	v_add_u32_e32 v0, v0, v1
	v_cndmask_b32_e64 v5, 64, 63, s[0:1]
	v_cmp_eq_u32_e64 s[0:1], v5, v2
	v_mov_b32_dpp v1, v0 row_bcast:31 row_mask:0xf bank_mask:0xf
	v_cndmask_b32_e32 v1, 0, v1, vcc
	v_add_u32_e32 v0, v0, v1
	v_lshrrev_b32_e32 v1, 6, v2
	v_cmp_lt_u32_e32 vcc, 63, v2
	s_and_saveexec_b64 s[4:5], s[0:1]
	s_cbranch_execz .LBB69_6
; %bb.5:
	v_lshlrev_b32_e32 v5, 2, v1
	ds_write_b32 v5, v0
.LBB69_6:
	s_or_b64 exec, exec, s[4:5]
	v_cmp_gt_u32_e64 s[0:1], 2, v2
	s_waitcnt lgkmcnt(0)
	s_barrier
	s_and_saveexec_b64 s[4:5], s[0:1]
	s_cbranch_execz .LBB69_8
; %bb.7:
	ds_read_b32 v2, v3
	v_bfe_i32 v5, v8, 0, 1
	s_waitcnt lgkmcnt(0)
	v_mov_b32_dpp v7, v2 row_shr:1 row_mask:0xf bank_mask:0xf
	v_and_b32_e32 v5, v5, v7
	v_add_u32_e32 v2, v5, v2
	ds_write_b32 v3, v2
.LBB69_8:
	s_or_b64 exec, exec, s[4:5]
	v_mov_b32_e32 v2, 0
	s_waitcnt lgkmcnt(0)
	s_barrier
	s_and_saveexec_b64 s[0:1], vcc
	s_cbranch_execz .LBB69_10
; %bb.9:
	v_lshl_add_u32 v1, v1, 2, -4
	ds_read_b32 v2, v1
.LBB69_10:
	s_or_b64 exec, exec, s[0:1]
	v_add_u32_e32 v1, -1, v8
	v_and_b32_e32 v5, 64, v8
	v_cmp_lt_i32_e32 vcc, v1, v5
	v_cndmask_b32_e32 v1, v1, v8, vcc
	s_waitcnt lgkmcnt(0)
	v_add_u32_e32 v0, v2, v0
	v_lshlrev_b32_e32 v1, 2, v1
	ds_bpermute_b32 v0, v1, v0
	v_cmp_eq_u32_e32 vcc, 0, v8
	v_lshlrev_b32_e32 v1, 2, v9
	s_lshl_b64 s[0:1], s[6:7], 2
	s_add_u32 s0, s2, s0
	s_waitcnt lgkmcnt(0)
	v_cndmask_b32_e32 v0, v0, v2, vcc
	ds_write_b32 v3, v0 offset:8
	s_waitcnt lgkmcnt(0)
	s_barrier
	ds_read_b32 v0, v6 offset:8
	s_waitcnt lgkmcnt(0)
	s_barrier
	s_addc_u32 s1, s3, s1
	v_add_u32_e32 v0, v0, v4
	ds_write_b32 v1, v0
	; wave barrier
	ds_read_b32 v0, v1
	s_waitcnt lgkmcnt(0)
	global_store_dword v3, v0, s[0:1]
	s_endpgm
	.section	.rodata,"a",@progbits
	.p2align	6, 0x0
	.amdhsa_kernel _Z11rank_kernelILj65ELj1ELj4ELb0EL18RadixRankAlgorithm2EdEvPKT4_Pijj
		.amdhsa_group_segment_fixed_size 528
		.amdhsa_private_segment_fixed_size 0
		.amdhsa_kernarg_size 280
		.amdhsa_user_sgpr_count 6
		.amdhsa_user_sgpr_private_segment_buffer 1
		.amdhsa_user_sgpr_dispatch_ptr 0
		.amdhsa_user_sgpr_queue_ptr 0
		.amdhsa_user_sgpr_kernarg_segment_ptr 1
		.amdhsa_user_sgpr_dispatch_id 0
		.amdhsa_user_sgpr_flat_scratch_init 0
		.amdhsa_user_sgpr_kernarg_preload_length 0
		.amdhsa_user_sgpr_kernarg_preload_offset 0
		.amdhsa_user_sgpr_private_segment_size 0
		.amdhsa_uses_dynamic_stack 0
		.amdhsa_system_sgpr_private_segment_wavefront_offset 0
		.amdhsa_system_sgpr_workgroup_id_x 1
		.amdhsa_system_sgpr_workgroup_id_y 0
		.amdhsa_system_sgpr_workgroup_id_z 0
		.amdhsa_system_sgpr_workgroup_info 0
		.amdhsa_system_vgpr_workitem_id 2
		.amdhsa_next_free_vgpr 13
		.amdhsa_next_free_sgpr 12
		.amdhsa_accum_offset 16
		.amdhsa_reserve_vcc 1
		.amdhsa_reserve_flat_scratch 0
		.amdhsa_float_round_mode_32 0
		.amdhsa_float_round_mode_16_64 0
		.amdhsa_float_denorm_mode_32 3
		.amdhsa_float_denorm_mode_16_64 3
		.amdhsa_dx10_clamp 1
		.amdhsa_ieee_mode 1
		.amdhsa_fp16_overflow 0
		.amdhsa_tg_split 0
		.amdhsa_exception_fp_ieee_invalid_op 0
		.amdhsa_exception_fp_denorm_src 0
		.amdhsa_exception_fp_ieee_div_zero 0
		.amdhsa_exception_fp_ieee_overflow 0
		.amdhsa_exception_fp_ieee_underflow 0
		.amdhsa_exception_fp_ieee_inexact 0
		.amdhsa_exception_int_div_zero 0
	.end_amdhsa_kernel
	.section	.text._Z11rank_kernelILj65ELj1ELj4ELb0EL18RadixRankAlgorithm2EdEvPKT4_Pijj,"axG",@progbits,_Z11rank_kernelILj65ELj1ELj4ELb0EL18RadixRankAlgorithm2EdEvPKT4_Pijj,comdat
.Lfunc_end69:
	.size	_Z11rank_kernelILj65ELj1ELj4ELb0EL18RadixRankAlgorithm2EdEvPKT4_Pijj, .Lfunc_end69-_Z11rank_kernelILj65ELj1ELj4ELb0EL18RadixRankAlgorithm2EdEvPKT4_Pijj
                                        ; -- End function
	.section	.AMDGPU.csdata,"",@progbits
; Kernel info:
; codeLenInByte = 968
; NumSgprs: 16
; NumVgprs: 13
; NumAgprs: 0
; TotalNumVgprs: 13
; ScratchSize: 0
; MemoryBound: 0
; FloatMode: 240
; IeeeMode: 1
; LDSByteSize: 528 bytes/workgroup (compile time only)
; SGPRBlocks: 1
; VGPRBlocks: 1
; NumSGPRsForWavesPerEU: 16
; NumVGPRsForWavesPerEU: 13
; AccumOffset: 16
; Occupancy: 8
; WaveLimiterHint : 0
; COMPUTE_PGM_RSRC2:SCRATCH_EN: 0
; COMPUTE_PGM_RSRC2:USER_SGPR: 6
; COMPUTE_PGM_RSRC2:TRAP_HANDLER: 0
; COMPUTE_PGM_RSRC2:TGID_X_EN: 1
; COMPUTE_PGM_RSRC2:TGID_Y_EN: 0
; COMPUTE_PGM_RSRC2:TGID_Z_EN: 0
; COMPUTE_PGM_RSRC2:TIDIG_COMP_CNT: 2
; COMPUTE_PGM_RSRC3_GFX90A:ACCUM_OFFSET: 3
; COMPUTE_PGM_RSRC3_GFX90A:TG_SPLIT: 0
	.section	.text._Z11rank_kernelILj512ELj1ELj4ELb1EL18RadixRankAlgorithm2EtEvPKT4_Pijj,"axG",@progbits,_Z11rank_kernelILj512ELj1ELj4ELb1EL18RadixRankAlgorithm2EtEvPKT4_Pijj,comdat
	.protected	_Z11rank_kernelILj512ELj1ELj4ELb1EL18RadixRankAlgorithm2EtEvPKT4_Pijj ; -- Begin function _Z11rank_kernelILj512ELj1ELj4ELb1EL18RadixRankAlgorithm2EtEvPKT4_Pijj
	.globl	_Z11rank_kernelILj512ELj1ELj4ELb1EL18RadixRankAlgorithm2EtEvPKT4_Pijj
	.p2align	8
	.type	_Z11rank_kernelILj512ELj1ELj4ELb1EL18RadixRankAlgorithm2EtEvPKT4_Pijj,@function
_Z11rank_kernelILj512ELj1ELj4ELb1EL18RadixRankAlgorithm2EtEvPKT4_Pijj: ; @_Z11rank_kernelILj512ELj1ELj4ELb1EL18RadixRankAlgorithm2EtEvPKT4_Pijj
; %bb.0:
	s_load_dwordx4 s[0:3], s[4:5], 0x0
	s_load_dwordx2 s[8:9], s[4:5], 0x10
	s_lshl_b32 s6, s6, 9
	s_mov_b32 s7, 0
	s_lshl_b64 s[10:11], s[6:7], 1
	s_waitcnt lgkmcnt(0)
	s_add_u32 s0, s0, s10
	v_and_b32_e32 v2, 0x3ff, v0
	s_addc_u32 s1, s1, s11
	v_lshlrev_b32_e32 v1, 1, v2
	global_load_ushort v7, v1, s[0:1]
	s_load_dword s0, s[4:5], 0x24
	v_mbcnt_lo_u32_b32 v1, -1, 0
	v_mbcnt_hi_u32_b32 v4, -1, v1
	v_bfe_u32 v1, v0, 10, 10
	v_bfe_u32 v0, v0, 20, 10
	v_and_b32_e32 v6, 0x1c0, v2
	s_waitcnt lgkmcnt(0)
	s_lshr_b32 s1, s0, 16
	v_lshlrev_b32_e32 v3, 2, v2
	v_add_u32_e32 v5, v4, v6
	s_and_b32 s0, s0, 0xffff
	v_mad_u32_u24 v0, v0, s1, v1
	v_lshlrev_b32_e32 v9, 1, v5
	v_mad_u64_u32 v[0:1], s[0:1], v0, s0, v[2:3]
	s_and_b32 s4, s9, 31
	s_and_b32 s5, s8, 31
	s_add_i32 s5, s5, s4
	s_sub_i32 s0, 32, s5
	s_sub_i32 s8, 32, s4
	s_cmp_lg_u32 s4, 0
	s_cselect_b64 vcc, -1, 0
	v_lshrrev_b32_e32 v0, 6, v0
	v_mov_b32_e32 v8, 0
	s_waitcnt vmcnt(0)
	ds_write_b16 v9, v7
	; wave barrier
	ds_read_u16 v1, v9
	s_waitcnt lgkmcnt(0)
	s_barrier
	ds_write_b32 v3, v8 offset:32
	v_lshlrev_b32_e32 v1, s0, v1
	v_bfe_u32 v1, v1, s8, 16
	v_xor_b32_e32 v1, 15, v1
	v_cndmask_b32_e32 v1, 15, v1, vcc
	v_mul_u32_u24_e32 v7, 9, v1
	v_and_b32_e32 v10, 1, v1
	v_add_lshl_u32 v7, v0, v7, 2
	v_add_co_u32_e32 v0, vcc, -1, v10
	v_lshlrev_b32_e32 v9, 30, v1
	v_addc_co_u32_e64 v11, s[0:1], 0, -1, vcc
	v_cmp_ne_u32_e32 vcc, 0, v10
	v_cmp_gt_i64_e64 s[0:1], 0, v[8:9]
	v_not_b32_e32 v10, v9
	v_lshlrev_b32_e32 v9, 29, v1
	v_xor_b32_e32 v11, vcc_hi, v11
	v_xor_b32_e32 v0, vcc_lo, v0
	v_ashrrev_i32_e32 v10, 31, v10
	v_cmp_gt_i64_e32 vcc, 0, v[8:9]
	v_not_b32_e32 v12, v9
	v_lshlrev_b32_e32 v9, 28, v1
	v_and_b32_e32 v1, exec_hi, v11
	v_and_b32_e32 v0, exec_lo, v0
	v_xor_b32_e32 v11, s1, v10
	v_xor_b32_e32 v10, s0, v10
	v_ashrrev_i32_e32 v12, 31, v12
	v_cmp_gt_i64_e64 s[0:1], 0, v[8:9]
	v_not_b32_e32 v8, v9
	v_and_b32_e32 v1, v1, v11
	v_and_b32_e32 v0, v0, v10
	v_xor_b32_e32 v9, vcc_hi, v12
	v_xor_b32_e32 v10, vcc_lo, v12
	v_ashrrev_i32_e32 v8, 31, v8
	v_and_b32_e32 v1, v1, v9
	v_and_b32_e32 v0, v0, v10
	v_xor_b32_e32 v9, s1, v8
	v_xor_b32_e32 v8, s0, v8
	v_and_b32_e32 v0, v0, v8
	v_and_b32_e32 v1, v1, v9
	v_mbcnt_lo_u32_b32 v8, v0, 0
	v_mbcnt_hi_u32_b32 v8, v1, v8
	v_cmp_eq_u32_e32 vcc, 0, v8
	v_cmp_ne_u64_e64 s[0:1], 0, v[0:1]
	s_and_b64 s[4:5], s[0:1], vcc
	s_waitcnt lgkmcnt(0)
	s_barrier
	s_waitcnt lgkmcnt(0)
	; wave barrier
	s_and_saveexec_b64 s[0:1], s[4:5]
	s_cbranch_execz .LBB70_2
; %bb.1:
	v_bcnt_u32_b32 v0, v0, 0
	v_bcnt_u32_b32 v0, v1, v0
	ds_write_b32 v7, v0 offset:32
.LBB70_2:
	s_or_b64 exec, exec, s[0:1]
	; wave barrier
	s_waitcnt lgkmcnt(0)
	s_barrier
	ds_read_b32 v0, v3 offset:32
	v_and_b32_e32 v1, 15, v4
	v_cmp_ne_u32_e32 vcc, 0, v1
	v_min_u32_e32 v6, 0x1c0, v6
	v_or_b32_e32 v6, 63, v6
	s_waitcnt lgkmcnt(0)
	v_mov_b32_dpp v9, v0 row_shr:1 row_mask:0xf bank_mask:0xf
	v_cndmask_b32_e32 v9, 0, v9, vcc
	v_add_u32_e32 v0, v9, v0
	v_cmp_lt_u32_e32 vcc, 1, v1
	s_nop 0
	v_mov_b32_dpp v9, v0 row_shr:2 row_mask:0xf bank_mask:0xf
	v_cndmask_b32_e32 v9, 0, v9, vcc
	v_add_u32_e32 v0, v0, v9
	v_cmp_lt_u32_e32 vcc, 3, v1
	s_nop 0
	;; [unrolled: 5-line block ×3, first 2 shown]
	v_mov_b32_dpp v9, v0 row_shr:8 row_mask:0xf bank_mask:0xf
	v_cndmask_b32_e32 v1, 0, v9, vcc
	v_add_u32_e32 v0, v0, v1
	v_bfe_i32 v9, v4, 4, 1
	v_cmp_lt_u32_e32 vcc, 31, v4
	v_mov_b32_dpp v1, v0 row_bcast:15 row_mask:0xf bank_mask:0xf
	v_and_b32_e32 v1, v9, v1
	v_add_u32_e32 v0, v0, v1
	s_nop 1
	v_mov_b32_dpp v1, v0 row_bcast:31 row_mask:0xf bank_mask:0xf
	v_cndmask_b32_e32 v1, 0, v1, vcc
	v_add_u32_e32 v0, v0, v1
	v_lshrrev_b32_e32 v1, 6, v2
	v_cmp_eq_u32_e32 vcc, v6, v2
	s_and_saveexec_b64 s[0:1], vcc
	s_cbranch_execz .LBB70_4
; %bb.3:
	v_lshlrev_b32_e32 v6, 2, v1
	ds_write_b32 v6, v0
.LBB70_4:
	s_or_b64 exec, exec, s[0:1]
	v_cmp_gt_u32_e32 vcc, 8, v2
	s_waitcnt lgkmcnt(0)
	s_barrier
	s_and_saveexec_b64 s[0:1], vcc
	s_cbranch_execz .LBB70_6
; %bb.5:
	ds_read_b32 v6, v3
	v_and_b32_e32 v9, 7, v4
	v_cmp_ne_u32_e32 vcc, 0, v9
	s_waitcnt lgkmcnt(0)
	v_mov_b32_dpp v10, v6 row_shr:1 row_mask:0xf bank_mask:0xf
	v_cndmask_b32_e32 v10, 0, v10, vcc
	v_add_u32_e32 v6, v10, v6
	v_cmp_lt_u32_e32 vcc, 1, v9
	s_nop 0
	v_mov_b32_dpp v10, v6 row_shr:2 row_mask:0xf bank_mask:0xf
	v_cndmask_b32_e32 v10, 0, v10, vcc
	v_add_u32_e32 v6, v6, v10
	v_cmp_lt_u32_e32 vcc, 3, v9
	s_nop 0
	v_mov_b32_dpp v10, v6 row_shr:4 row_mask:0xf bank_mask:0xf
	v_cndmask_b32_e32 v9, 0, v10, vcc
	v_add_u32_e32 v6, v6, v9
	ds_write_b32 v3, v6
.LBB70_6:
	s_or_b64 exec, exec, s[0:1]
	v_cmp_lt_u32_e32 vcc, 63, v2
	v_mov_b32_e32 v2, 0
	s_waitcnt lgkmcnt(0)
	s_barrier
	s_and_saveexec_b64 s[0:1], vcc
	s_cbranch_execz .LBB70_8
; %bb.7:
	v_lshl_add_u32 v1, v1, 2, -4
	ds_read_b32 v2, v1
.LBB70_8:
	s_or_b64 exec, exec, s[0:1]
	v_add_u32_e32 v1, -1, v4
	v_and_b32_e32 v6, 64, v4
	v_cmp_lt_i32_e32 vcc, v1, v6
	v_cndmask_b32_e32 v1, v1, v4, vcc
	s_waitcnt lgkmcnt(0)
	v_add_u32_e32 v0, v2, v0
	v_lshlrev_b32_e32 v1, 2, v1
	ds_bpermute_b32 v0, v1, v0
	v_cmp_eq_u32_e32 vcc, 0, v4
	v_lshlrev_b32_e32 v1, 2, v5
	s_lshl_b64 s[0:1], s[6:7], 2
	s_add_u32 s0, s2, s0
	s_waitcnt lgkmcnt(0)
	v_cndmask_b32_e32 v0, v0, v2, vcc
	ds_write_b32 v3, v0 offset:32
	s_waitcnt lgkmcnt(0)
	s_barrier
	ds_read_b32 v0, v7 offset:32
	s_waitcnt lgkmcnt(0)
	s_barrier
	s_addc_u32 s1, s3, s1
	v_add_u32_e32 v0, v0, v8
	ds_write_b32 v1, v0
	; wave barrier
	ds_read_b32 v0, v1
	s_waitcnt lgkmcnt(0)
	global_store_dword v3, v0, s[0:1]
	s_endpgm
	.section	.rodata,"a",@progbits
	.p2align	6, 0x0
	.amdhsa_kernel _Z11rank_kernelILj512ELj1ELj4ELb1EL18RadixRankAlgorithm2EtEvPKT4_Pijj
		.amdhsa_group_segment_fixed_size 2080
		.amdhsa_private_segment_fixed_size 0
		.amdhsa_kernarg_size 280
		.amdhsa_user_sgpr_count 6
		.amdhsa_user_sgpr_private_segment_buffer 1
		.amdhsa_user_sgpr_dispatch_ptr 0
		.amdhsa_user_sgpr_queue_ptr 0
		.amdhsa_user_sgpr_kernarg_segment_ptr 1
		.amdhsa_user_sgpr_dispatch_id 0
		.amdhsa_user_sgpr_flat_scratch_init 0
		.amdhsa_user_sgpr_kernarg_preload_length 0
		.amdhsa_user_sgpr_kernarg_preload_offset 0
		.amdhsa_user_sgpr_private_segment_size 0
		.amdhsa_uses_dynamic_stack 0
		.amdhsa_system_sgpr_private_segment_wavefront_offset 0
		.amdhsa_system_sgpr_workgroup_id_x 1
		.amdhsa_system_sgpr_workgroup_id_y 0
		.amdhsa_system_sgpr_workgroup_id_z 0
		.amdhsa_system_sgpr_workgroup_info 0
		.amdhsa_system_vgpr_workitem_id 2
		.amdhsa_next_free_vgpr 13
		.amdhsa_next_free_sgpr 12
		.amdhsa_accum_offset 16
		.amdhsa_reserve_vcc 1
		.amdhsa_reserve_flat_scratch 0
		.amdhsa_float_round_mode_32 0
		.amdhsa_float_round_mode_16_64 0
		.amdhsa_float_denorm_mode_32 3
		.amdhsa_float_denorm_mode_16_64 3
		.amdhsa_dx10_clamp 1
		.amdhsa_ieee_mode 1
		.amdhsa_fp16_overflow 0
		.amdhsa_tg_split 0
		.amdhsa_exception_fp_ieee_invalid_op 0
		.amdhsa_exception_fp_denorm_src 0
		.amdhsa_exception_fp_ieee_div_zero 0
		.amdhsa_exception_fp_ieee_overflow 0
		.amdhsa_exception_fp_ieee_underflow 0
		.amdhsa_exception_fp_ieee_inexact 0
		.amdhsa_exception_int_div_zero 0
	.end_amdhsa_kernel
	.section	.text._Z11rank_kernelILj512ELj1ELj4ELb1EL18RadixRankAlgorithm2EtEvPKT4_Pijj,"axG",@progbits,_Z11rank_kernelILj512ELj1ELj4ELb1EL18RadixRankAlgorithm2EtEvPKT4_Pijj,comdat
.Lfunc_end70:
	.size	_Z11rank_kernelILj512ELj1ELj4ELb1EL18RadixRankAlgorithm2EtEvPKT4_Pijj, .Lfunc_end70-_Z11rank_kernelILj512ELj1ELj4ELb1EL18RadixRankAlgorithm2EtEvPKT4_Pijj
                                        ; -- End function
	.section	.AMDGPU.csdata,"",@progbits
; Kernel info:
; codeLenInByte = 976
; NumSgprs: 16
; NumVgprs: 13
; NumAgprs: 0
; TotalNumVgprs: 13
; ScratchSize: 0
; MemoryBound: 0
; FloatMode: 240
; IeeeMode: 1
; LDSByteSize: 2080 bytes/workgroup (compile time only)
; SGPRBlocks: 1
; VGPRBlocks: 1
; NumSGPRsForWavesPerEU: 16
; NumVGPRsForWavesPerEU: 13
; AccumOffset: 16
; Occupancy: 8
; WaveLimiterHint : 0
; COMPUTE_PGM_RSRC2:SCRATCH_EN: 0
; COMPUTE_PGM_RSRC2:USER_SGPR: 6
; COMPUTE_PGM_RSRC2:TRAP_HANDLER: 0
; COMPUTE_PGM_RSRC2:TGID_X_EN: 1
; COMPUTE_PGM_RSRC2:TGID_Y_EN: 0
; COMPUTE_PGM_RSRC2:TGID_Z_EN: 0
; COMPUTE_PGM_RSRC2:TIDIG_COMP_CNT: 2
; COMPUTE_PGM_RSRC3_GFX90A:ACCUM_OFFSET: 3
; COMPUTE_PGM_RSRC3_GFX90A:TG_SPLIT: 0
	.section	.text._Z11rank_kernelILj256ELj1ELj4ELb0EL18RadixRankAlgorithm2EfEvPKT4_Pijj,"axG",@progbits,_Z11rank_kernelILj256ELj1ELj4ELb0EL18RadixRankAlgorithm2EfEvPKT4_Pijj,comdat
	.protected	_Z11rank_kernelILj256ELj1ELj4ELb0EL18RadixRankAlgorithm2EfEvPKT4_Pijj ; -- Begin function _Z11rank_kernelILj256ELj1ELj4ELb0EL18RadixRankAlgorithm2EfEvPKT4_Pijj
	.globl	_Z11rank_kernelILj256ELj1ELj4ELb0EL18RadixRankAlgorithm2EfEvPKT4_Pijj
	.p2align	8
	.type	_Z11rank_kernelILj256ELj1ELj4ELb0EL18RadixRankAlgorithm2EfEvPKT4_Pijj,@function
_Z11rank_kernelILj256ELj1ELj4ELb0EL18RadixRankAlgorithm2EfEvPKT4_Pijj: ; @_Z11rank_kernelILj256ELj1ELj4ELb0EL18RadixRankAlgorithm2EfEvPKT4_Pijj
; %bb.0:
	s_load_dwordx4 s[0:3], s[4:5], 0x0
	s_load_dwordx2 s[8:9], s[4:5], 0x10
	s_lshl_b32 s6, s6, 8
	s_mov_b32 s7, 0
	s_lshl_b64 s[6:7], s[6:7], 2
	s_waitcnt lgkmcnt(0)
	s_add_u32 s0, s0, s6
	v_and_b32_e32 v2, 0x3ff, v0
	s_addc_u32 s1, s1, s7
	v_lshlrev_b32_e32 v3, 2, v2
	global_load_dword v7, v3, s[0:1]
	s_load_dword s0, s[4:5], 0x24
	v_mbcnt_lo_u32_b32 v1, -1, 0
	v_mbcnt_hi_u32_b32 v5, -1, v1
	v_bfe_u32 v1, v0, 10, 10
	v_bfe_u32 v0, v0, 20, 10
	s_waitcnt lgkmcnt(0)
	s_lshr_b32 s1, s0, 16
	v_and_b32_e32 v6, 0xc0, v2
	s_and_b32 s0, s0, 0xffff
	v_mad_u32_u24 v0, v0, s1, v1
	v_add_lshl_u32 v4, v5, v6, 2
	v_mad_u64_u32 v[0:1], s[0:1], v0, s0, v[2:3]
	v_bfrev_b32_e32 v9, 1
	s_brev_b32 s10, -2
	s_and_b32 s4, s9, 31
	s_and_b32 s5, s8, 31
	s_add_i32 s5, s5, s4
	s_sub_i32 s8, 32, s4
	s_sub_i32 s0, 32, s5
	s_cmp_lg_u32 s4, 0
	v_lshrrev_b32_e32 v0, 6, v0
	v_mov_b32_e32 v8, 0
	s_waitcnt vmcnt(0)
	ds_write_b32 v4, v7
	; wave barrier
	ds_read_b32 v1, v4
	s_waitcnt lgkmcnt(0)
	s_barrier
	ds_write_b32 v3, v8 offset:16
	v_cmp_lt_i32_e32 vcc, -1, v1
	v_cndmask_b32_e32 v7, -1, v9, vcc
	v_xor_b32_e32 v1, v7, v1
	v_cmp_ne_u32_e32 vcc, s10, v1
	v_cndmask_b32_e32 v1, v9, v1, vcc
	v_lshlrev_b32_e32 v1, s0, v1
	v_lshrrev_b32_e32 v1, s8, v1
	s_cselect_b64 vcc, -1, 0
	v_cndmask_b32_e32 v1, 0, v1, vcc
	v_lshl_add_u32 v7, v1, 2, v1
	v_and_b32_e32 v10, 1, v1
	v_add_lshl_u32 v7, v0, v7, 2
	v_add_co_u32_e32 v0, vcc, -1, v10
	v_lshlrev_b32_e32 v9, 30, v1
	v_addc_co_u32_e64 v11, s[0:1], 0, -1, vcc
	v_cmp_ne_u32_e32 vcc, 0, v10
	v_cmp_gt_i64_e64 s[0:1], 0, v[8:9]
	v_not_b32_e32 v10, v9
	v_lshlrev_b32_e32 v9, 29, v1
	v_xor_b32_e32 v11, vcc_hi, v11
	v_xor_b32_e32 v0, vcc_lo, v0
	v_ashrrev_i32_e32 v10, 31, v10
	v_cmp_gt_i64_e32 vcc, 0, v[8:9]
	v_not_b32_e32 v12, v9
	v_lshlrev_b32_e32 v9, 28, v1
	v_and_b32_e32 v1, exec_hi, v11
	v_and_b32_e32 v0, exec_lo, v0
	v_xor_b32_e32 v11, s1, v10
	v_xor_b32_e32 v10, s0, v10
	v_ashrrev_i32_e32 v12, 31, v12
	v_cmp_gt_i64_e64 s[0:1], 0, v[8:9]
	v_not_b32_e32 v8, v9
	v_and_b32_e32 v1, v1, v11
	v_and_b32_e32 v0, v0, v10
	v_xor_b32_e32 v9, vcc_hi, v12
	v_xor_b32_e32 v10, vcc_lo, v12
	v_ashrrev_i32_e32 v8, 31, v8
	v_and_b32_e32 v1, v1, v9
	v_and_b32_e32 v0, v0, v10
	v_xor_b32_e32 v9, s1, v8
	v_xor_b32_e32 v8, s0, v8
	v_and_b32_e32 v0, v0, v8
	v_and_b32_e32 v1, v1, v9
	v_mbcnt_lo_u32_b32 v8, v0, 0
	v_mbcnt_hi_u32_b32 v8, v1, v8
	v_cmp_eq_u32_e32 vcc, 0, v8
	v_cmp_ne_u64_e64 s[0:1], 0, v[0:1]
	s_and_b64 s[4:5], s[0:1], vcc
	s_waitcnt lgkmcnt(0)
	s_barrier
	s_waitcnt lgkmcnt(0)
	; wave barrier
	s_and_saveexec_b64 s[0:1], s[4:5]
	s_cbranch_execz .LBB71_2
; %bb.1:
	v_bcnt_u32_b32 v0, v0, 0
	v_bcnt_u32_b32 v0, v1, v0
	ds_write_b32 v7, v0 offset:16
.LBB71_2:
	s_or_b64 exec, exec, s[0:1]
	; wave barrier
	s_waitcnt lgkmcnt(0)
	s_barrier
	ds_read_b32 v0, v3 offset:16
	v_and_b32_e32 v1, 15, v5
	v_cmp_ne_u32_e32 vcc, 0, v1
	v_min_u32_e32 v6, 0xc0, v6
	v_or_b32_e32 v6, 63, v6
	s_waitcnt lgkmcnt(0)
	v_mov_b32_dpp v9, v0 row_shr:1 row_mask:0xf bank_mask:0xf
	v_cndmask_b32_e32 v9, 0, v9, vcc
	v_add_u32_e32 v0, v9, v0
	v_cmp_lt_u32_e32 vcc, 1, v1
	s_nop 0
	v_mov_b32_dpp v9, v0 row_shr:2 row_mask:0xf bank_mask:0xf
	v_cndmask_b32_e32 v9, 0, v9, vcc
	v_add_u32_e32 v0, v0, v9
	v_cmp_lt_u32_e32 vcc, 3, v1
	s_nop 0
	;; [unrolled: 5-line block ×3, first 2 shown]
	v_mov_b32_dpp v9, v0 row_shr:8 row_mask:0xf bank_mask:0xf
	v_cndmask_b32_e32 v1, 0, v9, vcc
	v_add_u32_e32 v0, v0, v1
	v_bfe_i32 v9, v5, 4, 1
	v_cmp_lt_u32_e32 vcc, 31, v5
	v_mov_b32_dpp v1, v0 row_bcast:15 row_mask:0xf bank_mask:0xf
	v_and_b32_e32 v1, v9, v1
	v_add_u32_e32 v0, v0, v1
	s_nop 1
	v_mov_b32_dpp v1, v0 row_bcast:31 row_mask:0xf bank_mask:0xf
	v_cndmask_b32_e32 v1, 0, v1, vcc
	v_add_u32_e32 v0, v0, v1
	v_lshrrev_b32_e32 v1, 6, v2
	v_cmp_eq_u32_e32 vcc, v6, v2
	s_and_saveexec_b64 s[0:1], vcc
	s_cbranch_execz .LBB71_4
; %bb.3:
	v_lshlrev_b32_e32 v6, 2, v1
	ds_write_b32 v6, v0
.LBB71_4:
	s_or_b64 exec, exec, s[0:1]
	v_cmp_gt_u32_e32 vcc, 4, v2
	s_waitcnt lgkmcnt(0)
	s_barrier
	s_and_saveexec_b64 s[0:1], vcc
	s_cbranch_execz .LBB71_6
; %bb.5:
	ds_read_b32 v6, v3
	v_and_b32_e32 v9, 3, v5
	v_cmp_ne_u32_e32 vcc, 0, v9
	s_waitcnt lgkmcnt(0)
	v_mov_b32_dpp v10, v6 row_shr:1 row_mask:0xf bank_mask:0xf
	v_cndmask_b32_e32 v10, 0, v10, vcc
	v_add_u32_e32 v6, v10, v6
	v_cmp_lt_u32_e32 vcc, 1, v9
	s_nop 0
	v_mov_b32_dpp v10, v6 row_shr:2 row_mask:0xf bank_mask:0xf
	v_cndmask_b32_e32 v9, 0, v10, vcc
	v_add_u32_e32 v6, v6, v9
	ds_write_b32 v3, v6
.LBB71_6:
	s_or_b64 exec, exec, s[0:1]
	v_cmp_lt_u32_e32 vcc, 63, v2
	v_mov_b32_e32 v2, 0
	s_waitcnt lgkmcnt(0)
	s_barrier
	s_and_saveexec_b64 s[0:1], vcc
	s_cbranch_execz .LBB71_8
; %bb.7:
	v_lshl_add_u32 v1, v1, 2, -4
	ds_read_b32 v2, v1
.LBB71_8:
	s_or_b64 exec, exec, s[0:1]
	v_add_u32_e32 v1, -1, v5
	v_and_b32_e32 v6, 64, v5
	v_cmp_lt_i32_e32 vcc, v1, v6
	v_cndmask_b32_e32 v1, v1, v5, vcc
	s_waitcnt lgkmcnt(0)
	v_add_u32_e32 v0, v2, v0
	v_lshlrev_b32_e32 v1, 2, v1
	ds_bpermute_b32 v0, v1, v0
	v_cmp_eq_u32_e32 vcc, 0, v5
	s_add_u32 s0, s2, s6
	s_addc_u32 s1, s3, s7
	s_waitcnt lgkmcnt(0)
	v_cndmask_b32_e32 v0, v0, v2, vcc
	ds_write_b32 v3, v0 offset:16
	s_waitcnt lgkmcnt(0)
	s_barrier
	ds_read_b32 v0, v7 offset:16
	s_waitcnt lgkmcnt(0)
	s_barrier
	v_add_u32_e32 v0, v0, v8
	ds_write_b32 v4, v0
	; wave barrier
	ds_read_b32 v0, v4
	s_waitcnt lgkmcnt(0)
	global_store_dword v3, v0, s[0:1]
	s_endpgm
	.section	.rodata,"a",@progbits
	.p2align	6, 0x0
	.amdhsa_kernel _Z11rank_kernelILj256ELj1ELj4ELb0EL18RadixRankAlgorithm2EfEvPKT4_Pijj
		.amdhsa_group_segment_fixed_size 1040
		.amdhsa_private_segment_fixed_size 0
		.amdhsa_kernarg_size 280
		.amdhsa_user_sgpr_count 6
		.amdhsa_user_sgpr_private_segment_buffer 1
		.amdhsa_user_sgpr_dispatch_ptr 0
		.amdhsa_user_sgpr_queue_ptr 0
		.amdhsa_user_sgpr_kernarg_segment_ptr 1
		.amdhsa_user_sgpr_dispatch_id 0
		.amdhsa_user_sgpr_flat_scratch_init 0
		.amdhsa_user_sgpr_kernarg_preload_length 0
		.amdhsa_user_sgpr_kernarg_preload_offset 0
		.amdhsa_user_sgpr_private_segment_size 0
		.amdhsa_uses_dynamic_stack 0
		.amdhsa_system_sgpr_private_segment_wavefront_offset 0
		.amdhsa_system_sgpr_workgroup_id_x 1
		.amdhsa_system_sgpr_workgroup_id_y 0
		.amdhsa_system_sgpr_workgroup_id_z 0
		.amdhsa_system_sgpr_workgroup_info 0
		.amdhsa_system_vgpr_workitem_id 2
		.amdhsa_next_free_vgpr 13
		.amdhsa_next_free_sgpr 11
		.amdhsa_accum_offset 16
		.amdhsa_reserve_vcc 1
		.amdhsa_reserve_flat_scratch 0
		.amdhsa_float_round_mode_32 0
		.amdhsa_float_round_mode_16_64 0
		.amdhsa_float_denorm_mode_32 3
		.amdhsa_float_denorm_mode_16_64 3
		.amdhsa_dx10_clamp 1
		.amdhsa_ieee_mode 1
		.amdhsa_fp16_overflow 0
		.amdhsa_tg_split 0
		.amdhsa_exception_fp_ieee_invalid_op 0
		.amdhsa_exception_fp_denorm_src 0
		.amdhsa_exception_fp_ieee_div_zero 0
		.amdhsa_exception_fp_ieee_overflow 0
		.amdhsa_exception_fp_ieee_underflow 0
		.amdhsa_exception_fp_ieee_inexact 0
		.amdhsa_exception_int_div_zero 0
	.end_amdhsa_kernel
	.section	.text._Z11rank_kernelILj256ELj1ELj4ELb0EL18RadixRankAlgorithm2EfEvPKT4_Pijj,"axG",@progbits,_Z11rank_kernelILj256ELj1ELj4ELb0EL18RadixRankAlgorithm2EfEvPKT4_Pijj,comdat
.Lfunc_end71:
	.size	_Z11rank_kernelILj256ELj1ELj4ELb0EL18RadixRankAlgorithm2EfEvPKT4_Pijj, .Lfunc_end71-_Z11rank_kernelILj256ELj1ELj4ELb0EL18RadixRankAlgorithm2EfEvPKT4_Pijj
                                        ; -- End function
	.section	.AMDGPU.csdata,"",@progbits
; Kernel info:
; codeLenInByte = 964
; NumSgprs: 15
; NumVgprs: 13
; NumAgprs: 0
; TotalNumVgprs: 13
; ScratchSize: 0
; MemoryBound: 0
; FloatMode: 240
; IeeeMode: 1
; LDSByteSize: 1040 bytes/workgroup (compile time only)
; SGPRBlocks: 1
; VGPRBlocks: 1
; NumSGPRsForWavesPerEU: 15
; NumVGPRsForWavesPerEU: 13
; AccumOffset: 16
; Occupancy: 8
; WaveLimiterHint : 0
; COMPUTE_PGM_RSRC2:SCRATCH_EN: 0
; COMPUTE_PGM_RSRC2:USER_SGPR: 6
; COMPUTE_PGM_RSRC2:TRAP_HANDLER: 0
; COMPUTE_PGM_RSRC2:TGID_X_EN: 1
; COMPUTE_PGM_RSRC2:TGID_Y_EN: 0
; COMPUTE_PGM_RSRC2:TGID_Z_EN: 0
; COMPUTE_PGM_RSRC2:TIDIG_COMP_CNT: 2
; COMPUTE_PGM_RSRC3_GFX90A:ACCUM_OFFSET: 3
; COMPUTE_PGM_RSRC3_GFX90A:TG_SPLIT: 0
	.section	.text._Z11rank_kernelILj128ELj1ELj4ELb0EL18RadixRankAlgorithm2E12hip_bfloat16EvPKT4_Pijj,"axG",@progbits,_Z11rank_kernelILj128ELj1ELj4ELb0EL18RadixRankAlgorithm2E12hip_bfloat16EvPKT4_Pijj,comdat
	.protected	_Z11rank_kernelILj128ELj1ELj4ELb0EL18RadixRankAlgorithm2E12hip_bfloat16EvPKT4_Pijj ; -- Begin function _Z11rank_kernelILj128ELj1ELj4ELb0EL18RadixRankAlgorithm2E12hip_bfloat16EvPKT4_Pijj
	.globl	_Z11rank_kernelILj128ELj1ELj4ELb0EL18RadixRankAlgorithm2E12hip_bfloat16EvPKT4_Pijj
	.p2align	8
	.type	_Z11rank_kernelILj128ELj1ELj4ELb0EL18RadixRankAlgorithm2E12hip_bfloat16EvPKT4_Pijj,@function
_Z11rank_kernelILj128ELj1ELj4ELb0EL18RadixRankAlgorithm2E12hip_bfloat16EvPKT4_Pijj: ; @_Z11rank_kernelILj128ELj1ELj4ELb0EL18RadixRankAlgorithm2E12hip_bfloat16EvPKT4_Pijj
; %bb.0:
	s_load_dwordx4 s[0:3], s[4:5], 0x0
	s_load_dwordx2 s[8:9], s[4:5], 0x10
	s_lshl_b32 s6, s6, 7
	s_mov_b32 s7, 0
	s_lshl_b64 s[10:11], s[6:7], 1
	s_waitcnt lgkmcnt(0)
	s_add_u32 s0, s0, s10
	v_and_b32_e32 v2, 0x3ff, v0
	s_addc_u32 s1, s1, s11
	v_lshlrev_b32_e32 v1, 1, v2
	global_load_ushort v7, v1, s[0:1]
	s_load_dword s0, s[4:5], 0x24
	v_mbcnt_lo_u32_b32 v1, -1, 0
	v_mbcnt_hi_u32_b32 v5, -1, v1
	v_bfe_u32 v1, v0, 10, 10
	v_bfe_u32 v0, v0, 20, 10
	v_and_b32_e32 v6, 64, v2
	s_waitcnt lgkmcnt(0)
	s_lshr_b32 s1, s0, 16
	v_lshlrev_b32_e32 v3, 2, v2
	v_add_u32_e32 v4, v5, v6
	s_and_b32 s0, s0, 0xffff
	v_mad_u32_u24 v0, v0, s1, v1
	v_lshlrev_b32_e32 v10, 1, v4
	v_mad_u64_u32 v[0:1], s[0:1], v0, s0, v[2:3]
	v_mov_b32_e32 v9, 0xffff8000
	s_movk_i32 s10, 0x7fff
	s_and_b32 s4, s9, 31
	s_and_b32 s5, s8, 31
	s_add_i32 s5, s5, s4
	s_sub_i32 s8, 32, s4
	s_sub_i32 s0, 32, s5
	s_cmp_lg_u32 s4, 0
	v_lshrrev_b32_e32 v0, 6, v0
	v_mov_b32_e32 v8, 0
	s_waitcnt vmcnt(0)
	ds_write_b16 v10, v7
	; wave barrier
	ds_read_u16 v1, v10
	s_waitcnt lgkmcnt(0)
	s_barrier
	ds_write_b32 v3, v8 offset:8
	v_cmp_lt_i16_e32 vcc, -1, v1
	v_cndmask_b32_e32 v7, -1, v9, vcc
	v_xor_b32_e32 v1, v7, v1
	v_cmp_ne_u16_e32 vcc, s10, v1
	v_cndmask_b32_e32 v1, v9, v1, vcc
	v_lshlrev_b32_sdwa v1, s0, v1 dst_sel:DWORD dst_unused:UNUSED_PAD src0_sel:DWORD src1_sel:WORD_0
	v_bfe_u32 v1, v1, s8, 16
	s_cselect_b64 vcc, -1, 0
	v_cndmask_b32_e32 v1, 0, v1, vcc
	v_mul_u32_u24_e32 v7, 3, v1
	v_and_b32_e32 v10, 1, v1
	v_add_lshl_u32 v7, v7, v0, 2
	v_add_co_u32_e32 v0, vcc, -1, v10
	v_lshlrev_b32_e32 v9, 30, v1
	v_addc_co_u32_e64 v11, s[0:1], 0, -1, vcc
	v_cmp_ne_u32_e32 vcc, 0, v10
	v_cmp_gt_i64_e64 s[0:1], 0, v[8:9]
	v_not_b32_e32 v10, v9
	v_lshlrev_b32_e32 v9, 29, v1
	v_xor_b32_e32 v11, vcc_hi, v11
	v_xor_b32_e32 v0, vcc_lo, v0
	v_ashrrev_i32_e32 v10, 31, v10
	v_cmp_gt_i64_e32 vcc, 0, v[8:9]
	v_not_b32_e32 v12, v9
	v_lshlrev_b32_e32 v9, 28, v1
	v_and_b32_e32 v1, exec_hi, v11
	v_and_b32_e32 v0, exec_lo, v0
	v_xor_b32_e32 v11, s1, v10
	v_xor_b32_e32 v10, s0, v10
	v_ashrrev_i32_e32 v12, 31, v12
	v_cmp_gt_i64_e64 s[0:1], 0, v[8:9]
	v_not_b32_e32 v8, v9
	v_and_b32_e32 v1, v1, v11
	v_and_b32_e32 v0, v0, v10
	v_xor_b32_e32 v9, vcc_hi, v12
	v_xor_b32_e32 v10, vcc_lo, v12
	v_ashrrev_i32_e32 v8, 31, v8
	v_and_b32_e32 v1, v1, v9
	v_and_b32_e32 v0, v0, v10
	v_xor_b32_e32 v9, s1, v8
	v_xor_b32_e32 v8, s0, v8
	v_and_b32_e32 v0, v0, v8
	v_and_b32_e32 v1, v1, v9
	v_mbcnt_lo_u32_b32 v8, v0, 0
	v_mbcnt_hi_u32_b32 v8, v1, v8
	v_cmp_eq_u32_e32 vcc, 0, v8
	v_cmp_ne_u64_e64 s[0:1], 0, v[0:1]
	s_and_b64 s[4:5], s[0:1], vcc
	s_waitcnt lgkmcnt(0)
	s_barrier
	s_waitcnt lgkmcnt(0)
	; wave barrier
	s_and_saveexec_b64 s[0:1], s[4:5]
	s_cbranch_execz .LBB72_2
; %bb.1:
	v_bcnt_u32_b32 v0, v0, 0
	v_bcnt_u32_b32 v0, v1, v0
	ds_write_b32 v7, v0 offset:8
.LBB72_2:
	s_or_b64 exec, exec, s[0:1]
	; wave barrier
	s_waitcnt lgkmcnt(0)
	s_barrier
	ds_read_b32 v0, v3 offset:8
	v_and_b32_e32 v1, 15, v5
	v_cmp_ne_u32_e32 vcc, 0, v1
	v_min_u32_e32 v6, 64, v6
	v_or_b32_e32 v6, 63, v6
	s_waitcnt lgkmcnt(0)
	v_mov_b32_dpp v9, v0 row_shr:1 row_mask:0xf bank_mask:0xf
	v_cndmask_b32_e32 v9, 0, v9, vcc
	v_add_u32_e32 v0, v9, v0
	v_cmp_lt_u32_e32 vcc, 1, v1
	s_nop 0
	v_mov_b32_dpp v9, v0 row_shr:2 row_mask:0xf bank_mask:0xf
	v_cndmask_b32_e32 v9, 0, v9, vcc
	v_add_u32_e32 v0, v0, v9
	v_cmp_lt_u32_e32 vcc, 3, v1
	s_nop 0
	;; [unrolled: 5-line block ×3, first 2 shown]
	v_mov_b32_dpp v9, v0 row_shr:8 row_mask:0xf bank_mask:0xf
	v_cndmask_b32_e32 v1, 0, v9, vcc
	v_add_u32_e32 v0, v0, v1
	v_bfe_i32 v9, v5, 4, 1
	v_cmp_lt_u32_e32 vcc, 31, v5
	v_mov_b32_dpp v1, v0 row_bcast:15 row_mask:0xf bank_mask:0xf
	v_and_b32_e32 v1, v9, v1
	v_add_u32_e32 v0, v0, v1
	s_nop 1
	v_mov_b32_dpp v1, v0 row_bcast:31 row_mask:0xf bank_mask:0xf
	v_cndmask_b32_e32 v1, 0, v1, vcc
	v_add_u32_e32 v0, v0, v1
	v_lshrrev_b32_e32 v1, 6, v2
	v_cmp_eq_u32_e32 vcc, v6, v2
	s_and_saveexec_b64 s[0:1], vcc
	s_cbranch_execz .LBB72_4
; %bb.3:
	v_lshlrev_b32_e32 v6, 2, v1
	ds_write_b32 v6, v0
.LBB72_4:
	s_or_b64 exec, exec, s[0:1]
	v_cmp_gt_u32_e32 vcc, 2, v2
	s_waitcnt lgkmcnt(0)
	s_barrier
	s_and_saveexec_b64 s[0:1], vcc
	s_cbranch_execz .LBB72_6
; %bb.5:
	ds_read_b32 v6, v3
	v_bfe_i32 v9, v5, 0, 1
	s_waitcnt lgkmcnt(0)
	v_mov_b32_dpp v10, v6 row_shr:1 row_mask:0xf bank_mask:0xf
	v_and_b32_e32 v9, v9, v10
	v_add_u32_e32 v6, v9, v6
	ds_write_b32 v3, v6
.LBB72_6:
	s_or_b64 exec, exec, s[0:1]
	v_cmp_lt_u32_e32 vcc, 63, v2
	v_mov_b32_e32 v2, 0
	s_waitcnt lgkmcnt(0)
	s_barrier
	s_and_saveexec_b64 s[0:1], vcc
	s_cbranch_execz .LBB72_8
; %bb.7:
	v_lshl_add_u32 v1, v1, 2, -4
	ds_read_b32 v2, v1
.LBB72_8:
	s_or_b64 exec, exec, s[0:1]
	v_add_u32_e32 v1, -1, v5
	v_and_b32_e32 v6, 64, v5
	v_cmp_lt_i32_e32 vcc, v1, v6
	v_cndmask_b32_e32 v1, v1, v5, vcc
	s_waitcnt lgkmcnt(0)
	v_add_u32_e32 v0, v2, v0
	v_lshlrev_b32_e32 v1, 2, v1
	ds_bpermute_b32 v0, v1, v0
	v_cmp_eq_u32_e32 vcc, 0, v5
	v_lshlrev_b32_e32 v1, 2, v4
	s_lshl_b64 s[0:1], s[6:7], 2
	s_add_u32 s0, s2, s0
	s_waitcnt lgkmcnt(0)
	v_cndmask_b32_e32 v0, v0, v2, vcc
	ds_write_b32 v3, v0 offset:8
	s_waitcnt lgkmcnt(0)
	s_barrier
	ds_read_b32 v0, v7 offset:8
	s_waitcnt lgkmcnt(0)
	s_barrier
	s_addc_u32 s1, s3, s1
	v_add_u32_e32 v0, v0, v8
	ds_write_b32 v1, v0
	; wave barrier
	ds_read_b32 v0, v1
	s_waitcnt lgkmcnt(0)
	global_store_dword v3, v0, s[0:1]
	s_endpgm
	.section	.rodata,"a",@progbits
	.p2align	6, 0x0
	.amdhsa_kernel _Z11rank_kernelILj128ELj1ELj4ELb0EL18RadixRankAlgorithm2E12hip_bfloat16EvPKT4_Pijj
		.amdhsa_group_segment_fixed_size 528
		.amdhsa_private_segment_fixed_size 0
		.amdhsa_kernarg_size 280
		.amdhsa_user_sgpr_count 6
		.amdhsa_user_sgpr_private_segment_buffer 1
		.amdhsa_user_sgpr_dispatch_ptr 0
		.amdhsa_user_sgpr_queue_ptr 0
		.amdhsa_user_sgpr_kernarg_segment_ptr 1
		.amdhsa_user_sgpr_dispatch_id 0
		.amdhsa_user_sgpr_flat_scratch_init 0
		.amdhsa_user_sgpr_kernarg_preload_length 0
		.amdhsa_user_sgpr_kernarg_preload_offset 0
		.amdhsa_user_sgpr_private_segment_size 0
		.amdhsa_uses_dynamic_stack 0
		.amdhsa_system_sgpr_private_segment_wavefront_offset 0
		.amdhsa_system_sgpr_workgroup_id_x 1
		.amdhsa_system_sgpr_workgroup_id_y 0
		.amdhsa_system_sgpr_workgroup_id_z 0
		.amdhsa_system_sgpr_workgroup_info 0
		.amdhsa_system_vgpr_workitem_id 2
		.amdhsa_next_free_vgpr 13
		.amdhsa_next_free_sgpr 12
		.amdhsa_accum_offset 16
		.amdhsa_reserve_vcc 1
		.amdhsa_reserve_flat_scratch 0
		.amdhsa_float_round_mode_32 0
		.amdhsa_float_round_mode_16_64 0
		.amdhsa_float_denorm_mode_32 3
		.amdhsa_float_denorm_mode_16_64 3
		.amdhsa_dx10_clamp 1
		.amdhsa_ieee_mode 1
		.amdhsa_fp16_overflow 0
		.amdhsa_tg_split 0
		.amdhsa_exception_fp_ieee_invalid_op 0
		.amdhsa_exception_fp_denorm_src 0
		.amdhsa_exception_fp_ieee_div_zero 0
		.amdhsa_exception_fp_ieee_overflow 0
		.amdhsa_exception_fp_ieee_underflow 0
		.amdhsa_exception_fp_ieee_inexact 0
		.amdhsa_exception_int_div_zero 0
	.end_amdhsa_kernel
	.section	.text._Z11rank_kernelILj128ELj1ELj4ELb0EL18RadixRankAlgorithm2E12hip_bfloat16EvPKT4_Pijj,"axG",@progbits,_Z11rank_kernelILj128ELj1ELj4ELb0EL18RadixRankAlgorithm2E12hip_bfloat16EvPKT4_Pijj,comdat
.Lfunc_end72:
	.size	_Z11rank_kernelILj128ELj1ELj4ELb0EL18RadixRankAlgorithm2E12hip_bfloat16EvPKT4_Pijj, .Lfunc_end72-_Z11rank_kernelILj128ELj1ELj4ELb0EL18RadixRankAlgorithm2E12hip_bfloat16EvPKT4_Pijj
                                        ; -- End function
	.section	.AMDGPU.csdata,"",@progbits
; Kernel info:
; codeLenInByte = 952
; NumSgprs: 16
; NumVgprs: 13
; NumAgprs: 0
; TotalNumVgprs: 13
; ScratchSize: 0
; MemoryBound: 0
; FloatMode: 240
; IeeeMode: 1
; LDSByteSize: 528 bytes/workgroup (compile time only)
; SGPRBlocks: 1
; VGPRBlocks: 1
; NumSGPRsForWavesPerEU: 16
; NumVGPRsForWavesPerEU: 13
; AccumOffset: 16
; Occupancy: 8
; WaveLimiterHint : 0
; COMPUTE_PGM_RSRC2:SCRATCH_EN: 0
; COMPUTE_PGM_RSRC2:USER_SGPR: 6
; COMPUTE_PGM_RSRC2:TRAP_HANDLER: 0
; COMPUTE_PGM_RSRC2:TGID_X_EN: 1
; COMPUTE_PGM_RSRC2:TGID_Y_EN: 0
; COMPUTE_PGM_RSRC2:TGID_Z_EN: 0
; COMPUTE_PGM_RSRC2:TIDIG_COMP_CNT: 2
; COMPUTE_PGM_RSRC3_GFX90A:ACCUM_OFFSET: 3
; COMPUTE_PGM_RSRC3_GFX90A:TG_SPLIT: 0
	.section	.text._Z11rank_kernelILj128ELj1ELj4ELb0EL18RadixRankAlgorithm2E6__halfEvPKT4_Pijj,"axG",@progbits,_Z11rank_kernelILj128ELj1ELj4ELb0EL18RadixRankAlgorithm2E6__halfEvPKT4_Pijj,comdat
	.protected	_Z11rank_kernelILj128ELj1ELj4ELb0EL18RadixRankAlgorithm2E6__halfEvPKT4_Pijj ; -- Begin function _Z11rank_kernelILj128ELj1ELj4ELb0EL18RadixRankAlgorithm2E6__halfEvPKT4_Pijj
	.globl	_Z11rank_kernelILj128ELj1ELj4ELb0EL18RadixRankAlgorithm2E6__halfEvPKT4_Pijj
	.p2align	8
	.type	_Z11rank_kernelILj128ELj1ELj4ELb0EL18RadixRankAlgorithm2E6__halfEvPKT4_Pijj,@function
_Z11rank_kernelILj128ELj1ELj4ELb0EL18RadixRankAlgorithm2E6__halfEvPKT4_Pijj: ; @_Z11rank_kernelILj128ELj1ELj4ELb0EL18RadixRankAlgorithm2E6__halfEvPKT4_Pijj
; %bb.0:
	s_load_dwordx4 s[0:3], s[4:5], 0x0
	s_load_dwordx2 s[8:9], s[4:5], 0x10
	s_lshl_b32 s6, s6, 7
	s_mov_b32 s7, 0
	s_lshl_b64 s[10:11], s[6:7], 1
	s_waitcnt lgkmcnt(0)
	s_add_u32 s0, s0, s10
	v_and_b32_e32 v2, 0x3ff, v0
	s_addc_u32 s1, s1, s11
	v_lshlrev_b32_e32 v1, 1, v2
	global_load_ushort v7, v1, s[0:1]
	s_load_dword s0, s[4:5], 0x24
	v_mbcnt_lo_u32_b32 v1, -1, 0
	v_mbcnt_hi_u32_b32 v5, -1, v1
	v_bfe_u32 v1, v0, 10, 10
	v_bfe_u32 v0, v0, 20, 10
	v_and_b32_e32 v6, 64, v2
	s_waitcnt lgkmcnt(0)
	s_lshr_b32 s1, s0, 16
	v_lshlrev_b32_e32 v3, 2, v2
	v_add_u32_e32 v4, v5, v6
	s_and_b32 s0, s0, 0xffff
	v_mad_u32_u24 v0, v0, s1, v1
	v_lshlrev_b32_e32 v10, 1, v4
	v_mad_u64_u32 v[0:1], s[0:1], v0, s0, v[2:3]
	v_mov_b32_e32 v9, 0xffff8000
	s_movk_i32 s10, 0x7fff
	s_and_b32 s4, s9, 31
	s_and_b32 s5, s8, 31
	s_add_i32 s5, s5, s4
	s_sub_i32 s8, 32, s4
	s_sub_i32 s0, 32, s5
	s_cmp_lg_u32 s4, 0
	v_lshrrev_b32_e32 v0, 6, v0
	v_mov_b32_e32 v8, 0
	s_waitcnt vmcnt(0)
	ds_write_b16 v10, v7
	; wave barrier
	ds_read_u16 v1, v10
	s_waitcnt lgkmcnt(0)
	s_barrier
	ds_write_b32 v3, v8 offset:8
	v_cmp_lt_i16_e32 vcc, -1, v1
	v_cndmask_b32_e32 v7, -1, v9, vcc
	v_xor_b32_e32 v1, v7, v1
	v_cmp_ne_u16_e32 vcc, s10, v1
	v_cndmask_b32_e32 v1, v9, v1, vcc
	v_lshlrev_b32_sdwa v1, s0, v1 dst_sel:DWORD dst_unused:UNUSED_PAD src0_sel:DWORD src1_sel:WORD_0
	v_bfe_u32 v1, v1, s8, 16
	s_cselect_b64 vcc, -1, 0
	v_cndmask_b32_e32 v1, 0, v1, vcc
	v_mul_u32_u24_e32 v7, 3, v1
	v_and_b32_e32 v10, 1, v1
	v_add_lshl_u32 v7, v7, v0, 2
	v_add_co_u32_e32 v0, vcc, -1, v10
	v_lshlrev_b32_e32 v9, 30, v1
	v_addc_co_u32_e64 v11, s[0:1], 0, -1, vcc
	v_cmp_ne_u32_e32 vcc, 0, v10
	v_cmp_gt_i64_e64 s[0:1], 0, v[8:9]
	v_not_b32_e32 v10, v9
	v_lshlrev_b32_e32 v9, 29, v1
	v_xor_b32_e32 v11, vcc_hi, v11
	v_xor_b32_e32 v0, vcc_lo, v0
	v_ashrrev_i32_e32 v10, 31, v10
	v_cmp_gt_i64_e32 vcc, 0, v[8:9]
	v_not_b32_e32 v12, v9
	v_lshlrev_b32_e32 v9, 28, v1
	v_and_b32_e32 v1, exec_hi, v11
	v_and_b32_e32 v0, exec_lo, v0
	v_xor_b32_e32 v11, s1, v10
	v_xor_b32_e32 v10, s0, v10
	v_ashrrev_i32_e32 v12, 31, v12
	v_cmp_gt_i64_e64 s[0:1], 0, v[8:9]
	v_not_b32_e32 v8, v9
	v_and_b32_e32 v1, v1, v11
	v_and_b32_e32 v0, v0, v10
	v_xor_b32_e32 v9, vcc_hi, v12
	v_xor_b32_e32 v10, vcc_lo, v12
	v_ashrrev_i32_e32 v8, 31, v8
	v_and_b32_e32 v1, v1, v9
	v_and_b32_e32 v0, v0, v10
	v_xor_b32_e32 v9, s1, v8
	v_xor_b32_e32 v8, s0, v8
	v_and_b32_e32 v0, v0, v8
	v_and_b32_e32 v1, v1, v9
	v_mbcnt_lo_u32_b32 v8, v0, 0
	v_mbcnt_hi_u32_b32 v8, v1, v8
	v_cmp_eq_u32_e32 vcc, 0, v8
	v_cmp_ne_u64_e64 s[0:1], 0, v[0:1]
	s_and_b64 s[4:5], s[0:1], vcc
	s_waitcnt lgkmcnt(0)
	s_barrier
	s_waitcnt lgkmcnt(0)
	; wave barrier
	s_and_saveexec_b64 s[0:1], s[4:5]
	s_cbranch_execz .LBB73_2
; %bb.1:
	v_bcnt_u32_b32 v0, v0, 0
	v_bcnt_u32_b32 v0, v1, v0
	ds_write_b32 v7, v0 offset:8
.LBB73_2:
	s_or_b64 exec, exec, s[0:1]
	; wave barrier
	s_waitcnt lgkmcnt(0)
	s_barrier
	ds_read_b32 v0, v3 offset:8
	v_and_b32_e32 v1, 15, v5
	v_cmp_ne_u32_e32 vcc, 0, v1
	v_min_u32_e32 v6, 64, v6
	v_or_b32_e32 v6, 63, v6
	s_waitcnt lgkmcnt(0)
	v_mov_b32_dpp v9, v0 row_shr:1 row_mask:0xf bank_mask:0xf
	v_cndmask_b32_e32 v9, 0, v9, vcc
	v_add_u32_e32 v0, v9, v0
	v_cmp_lt_u32_e32 vcc, 1, v1
	s_nop 0
	v_mov_b32_dpp v9, v0 row_shr:2 row_mask:0xf bank_mask:0xf
	v_cndmask_b32_e32 v9, 0, v9, vcc
	v_add_u32_e32 v0, v0, v9
	v_cmp_lt_u32_e32 vcc, 3, v1
	s_nop 0
	;; [unrolled: 5-line block ×3, first 2 shown]
	v_mov_b32_dpp v9, v0 row_shr:8 row_mask:0xf bank_mask:0xf
	v_cndmask_b32_e32 v1, 0, v9, vcc
	v_add_u32_e32 v0, v0, v1
	v_bfe_i32 v9, v5, 4, 1
	v_cmp_lt_u32_e32 vcc, 31, v5
	v_mov_b32_dpp v1, v0 row_bcast:15 row_mask:0xf bank_mask:0xf
	v_and_b32_e32 v1, v9, v1
	v_add_u32_e32 v0, v0, v1
	s_nop 1
	v_mov_b32_dpp v1, v0 row_bcast:31 row_mask:0xf bank_mask:0xf
	v_cndmask_b32_e32 v1, 0, v1, vcc
	v_add_u32_e32 v0, v0, v1
	v_lshrrev_b32_e32 v1, 6, v2
	v_cmp_eq_u32_e32 vcc, v6, v2
	s_and_saveexec_b64 s[0:1], vcc
	s_cbranch_execz .LBB73_4
; %bb.3:
	v_lshlrev_b32_e32 v6, 2, v1
	ds_write_b32 v6, v0
.LBB73_4:
	s_or_b64 exec, exec, s[0:1]
	v_cmp_gt_u32_e32 vcc, 2, v2
	s_waitcnt lgkmcnt(0)
	s_barrier
	s_and_saveexec_b64 s[0:1], vcc
	s_cbranch_execz .LBB73_6
; %bb.5:
	ds_read_b32 v6, v3
	v_bfe_i32 v9, v5, 0, 1
	s_waitcnt lgkmcnt(0)
	v_mov_b32_dpp v10, v6 row_shr:1 row_mask:0xf bank_mask:0xf
	v_and_b32_e32 v9, v9, v10
	v_add_u32_e32 v6, v9, v6
	ds_write_b32 v3, v6
.LBB73_6:
	s_or_b64 exec, exec, s[0:1]
	v_cmp_lt_u32_e32 vcc, 63, v2
	v_mov_b32_e32 v2, 0
	s_waitcnt lgkmcnt(0)
	s_barrier
	s_and_saveexec_b64 s[0:1], vcc
	s_cbranch_execz .LBB73_8
; %bb.7:
	v_lshl_add_u32 v1, v1, 2, -4
	ds_read_b32 v2, v1
.LBB73_8:
	s_or_b64 exec, exec, s[0:1]
	v_add_u32_e32 v1, -1, v5
	v_and_b32_e32 v6, 64, v5
	v_cmp_lt_i32_e32 vcc, v1, v6
	v_cndmask_b32_e32 v1, v1, v5, vcc
	s_waitcnt lgkmcnt(0)
	v_add_u32_e32 v0, v2, v0
	v_lshlrev_b32_e32 v1, 2, v1
	ds_bpermute_b32 v0, v1, v0
	v_cmp_eq_u32_e32 vcc, 0, v5
	v_lshlrev_b32_e32 v1, 2, v4
	s_lshl_b64 s[0:1], s[6:7], 2
	s_add_u32 s0, s2, s0
	s_waitcnt lgkmcnt(0)
	v_cndmask_b32_e32 v0, v0, v2, vcc
	ds_write_b32 v3, v0 offset:8
	s_waitcnt lgkmcnt(0)
	s_barrier
	ds_read_b32 v0, v7 offset:8
	s_waitcnt lgkmcnt(0)
	s_barrier
	s_addc_u32 s1, s3, s1
	v_add_u32_e32 v0, v0, v8
	ds_write_b32 v1, v0
	; wave barrier
	ds_read_b32 v0, v1
	s_waitcnt lgkmcnt(0)
	global_store_dword v3, v0, s[0:1]
	s_endpgm
	.section	.rodata,"a",@progbits
	.p2align	6, 0x0
	.amdhsa_kernel _Z11rank_kernelILj128ELj1ELj4ELb0EL18RadixRankAlgorithm2E6__halfEvPKT4_Pijj
		.amdhsa_group_segment_fixed_size 528
		.amdhsa_private_segment_fixed_size 0
		.amdhsa_kernarg_size 280
		.amdhsa_user_sgpr_count 6
		.amdhsa_user_sgpr_private_segment_buffer 1
		.amdhsa_user_sgpr_dispatch_ptr 0
		.amdhsa_user_sgpr_queue_ptr 0
		.amdhsa_user_sgpr_kernarg_segment_ptr 1
		.amdhsa_user_sgpr_dispatch_id 0
		.amdhsa_user_sgpr_flat_scratch_init 0
		.amdhsa_user_sgpr_kernarg_preload_length 0
		.amdhsa_user_sgpr_kernarg_preload_offset 0
		.amdhsa_user_sgpr_private_segment_size 0
		.amdhsa_uses_dynamic_stack 0
		.amdhsa_system_sgpr_private_segment_wavefront_offset 0
		.amdhsa_system_sgpr_workgroup_id_x 1
		.amdhsa_system_sgpr_workgroup_id_y 0
		.amdhsa_system_sgpr_workgroup_id_z 0
		.amdhsa_system_sgpr_workgroup_info 0
		.amdhsa_system_vgpr_workitem_id 2
		.amdhsa_next_free_vgpr 13
		.amdhsa_next_free_sgpr 12
		.amdhsa_accum_offset 16
		.amdhsa_reserve_vcc 1
		.amdhsa_reserve_flat_scratch 0
		.amdhsa_float_round_mode_32 0
		.amdhsa_float_round_mode_16_64 0
		.amdhsa_float_denorm_mode_32 3
		.amdhsa_float_denorm_mode_16_64 3
		.amdhsa_dx10_clamp 1
		.amdhsa_ieee_mode 1
		.amdhsa_fp16_overflow 0
		.amdhsa_tg_split 0
		.amdhsa_exception_fp_ieee_invalid_op 0
		.amdhsa_exception_fp_denorm_src 0
		.amdhsa_exception_fp_ieee_div_zero 0
		.amdhsa_exception_fp_ieee_overflow 0
		.amdhsa_exception_fp_ieee_underflow 0
		.amdhsa_exception_fp_ieee_inexact 0
		.amdhsa_exception_int_div_zero 0
	.end_amdhsa_kernel
	.section	.text._Z11rank_kernelILj128ELj1ELj4ELb0EL18RadixRankAlgorithm2E6__halfEvPKT4_Pijj,"axG",@progbits,_Z11rank_kernelILj128ELj1ELj4ELb0EL18RadixRankAlgorithm2E6__halfEvPKT4_Pijj,comdat
.Lfunc_end73:
	.size	_Z11rank_kernelILj128ELj1ELj4ELb0EL18RadixRankAlgorithm2E6__halfEvPKT4_Pijj, .Lfunc_end73-_Z11rank_kernelILj128ELj1ELj4ELb0EL18RadixRankAlgorithm2E6__halfEvPKT4_Pijj
                                        ; -- End function
	.section	.AMDGPU.csdata,"",@progbits
; Kernel info:
; codeLenInByte = 952
; NumSgprs: 16
; NumVgprs: 13
; NumAgprs: 0
; TotalNumVgprs: 13
; ScratchSize: 0
; MemoryBound: 0
; FloatMode: 240
; IeeeMode: 1
; LDSByteSize: 528 bytes/workgroup (compile time only)
; SGPRBlocks: 1
; VGPRBlocks: 1
; NumSGPRsForWavesPerEU: 16
; NumVGPRsForWavesPerEU: 13
; AccumOffset: 16
; Occupancy: 8
; WaveLimiterHint : 0
; COMPUTE_PGM_RSRC2:SCRATCH_EN: 0
; COMPUTE_PGM_RSRC2:USER_SGPR: 6
; COMPUTE_PGM_RSRC2:TRAP_HANDLER: 0
; COMPUTE_PGM_RSRC2:TGID_X_EN: 1
; COMPUTE_PGM_RSRC2:TGID_Y_EN: 0
; COMPUTE_PGM_RSRC2:TGID_Z_EN: 0
; COMPUTE_PGM_RSRC2:TIDIG_COMP_CNT: 2
; COMPUTE_PGM_RSRC3_GFX90A:ACCUM_OFFSET: 3
; COMPUTE_PGM_RSRC3_GFX90A:TG_SPLIT: 0
	.section	.text._Z11rank_kernelILj64ELj1ELj4ELb0EL18RadixRankAlgorithm2EjEvPKT4_Pijj,"axG",@progbits,_Z11rank_kernelILj64ELj1ELj4ELb0EL18RadixRankAlgorithm2EjEvPKT4_Pijj,comdat
	.protected	_Z11rank_kernelILj64ELj1ELj4ELb0EL18RadixRankAlgorithm2EjEvPKT4_Pijj ; -- Begin function _Z11rank_kernelILj64ELj1ELj4ELb0EL18RadixRankAlgorithm2EjEvPKT4_Pijj
	.globl	_Z11rank_kernelILj64ELj1ELj4ELb0EL18RadixRankAlgorithm2EjEvPKT4_Pijj
	.p2align	8
	.type	_Z11rank_kernelILj64ELj1ELj4ELb0EL18RadixRankAlgorithm2EjEvPKT4_Pijj,@function
_Z11rank_kernelILj64ELj1ELj4ELb0EL18RadixRankAlgorithm2EjEvPKT4_Pijj: ; @_Z11rank_kernelILj64ELj1ELj4ELb0EL18RadixRankAlgorithm2EjEvPKT4_Pijj
; %bb.0:
	s_load_dwordx4 s[0:3], s[4:5], 0x0
	s_load_dwordx2 s[8:9], s[4:5], 0x10
	s_lshl_b32 s6, s6, 6
	s_mov_b32 s7, 0
	s_lshl_b64 s[6:7], s[6:7], 2
	s_waitcnt lgkmcnt(0)
	s_add_u32 s0, s0, s6
	v_and_b32_e32 v2, 0x3ff, v0
	s_addc_u32 s1, s1, s7
	v_lshlrev_b32_e32 v3, 2, v2
	global_load_dword v6, v3, s[0:1]
	s_load_dword s0, s[4:5], 0x24
	v_mbcnt_lo_u32_b32 v1, -1, 0
	v_mbcnt_hi_u32_b32 v5, -1, v1
	v_bfe_u32 v1, v0, 10, 10
	v_bfe_u32 v0, v0, 20, 10
	s_waitcnt lgkmcnt(0)
	s_lshr_b32 s1, s0, 16
	s_and_b32 s0, s0, 0xffff
	v_mad_u32_u24 v0, v0, s1, v1
	v_lshlrev_b32_e32 v4, 2, v5
	v_mad_u64_u32 v[0:1], s[0:1], v0, s0, v[2:3]
	s_and_b32 s4, s9, 31
	s_and_b32 s5, s8, 31
	s_add_i32 s5, s5, s4
	s_sub_i32 s8, 32, s4
	s_sub_i32 s0, 32, s5
	s_cmp_lg_u32 s4, 0
	s_cselect_b64 vcc, -1, 0
	v_lshrrev_b32_e32 v0, 6, v0
	v_mov_b32_e32 v8, 0
	s_waitcnt vmcnt(0)
	ds_write_b32 v4, v6
	; wave barrier
	ds_read_b32 v1, v4
	s_waitcnt lgkmcnt(0)
	; wave barrier
	s_waitcnt lgkmcnt(0)
	ds_write_b32 v3, v8 offset:4
	s_waitcnt lgkmcnt(0)
	v_lshlrev_b32_e32 v1, s0, v1
	v_lshrrev_b32_e32 v1, s8, v1
	v_cndmask_b32_e32 v1, 0, v1, vcc
	v_add_lshl_u32 v6, v0, v1, 2
	v_and_b32_e32 v0, 1, v1
	v_add_co_u32_e32 v7, vcc, -1, v0
	v_lshlrev_b32_e32 v9, 30, v1
	v_addc_co_u32_e64 v10, s[0:1], 0, -1, vcc
	v_cmp_ne_u32_e32 vcc, 0, v0
	v_cmp_gt_i64_e64 s[0:1], 0, v[8:9]
	v_not_b32_e32 v0, v9
	v_lshlrev_b32_e32 v9, 29, v1
	v_xor_b32_e32 v10, vcc_hi, v10
	v_xor_b32_e32 v7, vcc_lo, v7
	v_ashrrev_i32_e32 v0, 31, v0
	v_cmp_gt_i64_e32 vcc, 0, v[8:9]
	v_not_b32_e32 v11, v9
	v_lshlrev_b32_e32 v9, 28, v1
	v_and_b32_e32 v1, exec_hi, v10
	v_and_b32_e32 v7, exec_lo, v7
	v_xor_b32_e32 v10, s1, v0
	v_xor_b32_e32 v0, s0, v0
	v_ashrrev_i32_e32 v11, 31, v11
	v_cmp_gt_i64_e64 s[0:1], 0, v[8:9]
	v_not_b32_e32 v8, v9
	v_and_b32_e32 v1, v1, v10
	v_and_b32_e32 v0, v7, v0
	v_xor_b32_e32 v7, vcc_hi, v11
	v_xor_b32_e32 v9, vcc_lo, v11
	v_ashrrev_i32_e32 v8, 31, v8
	v_and_b32_e32 v1, v1, v7
	v_and_b32_e32 v0, v0, v9
	v_xor_b32_e32 v7, s1, v8
	v_xor_b32_e32 v8, s0, v8
	v_and_b32_e32 v0, v0, v8
	v_and_b32_e32 v1, v1, v7
	v_mbcnt_lo_u32_b32 v7, v0, 0
	v_mbcnt_hi_u32_b32 v7, v1, v7
	v_cmp_eq_u32_e32 vcc, 0, v7
	v_cmp_ne_u64_e64 s[0:1], 0, v[0:1]
	s_and_b64 s[4:5], s[0:1], vcc
	; wave barrier
	s_waitcnt lgkmcnt(0)
	; wave barrier
	s_and_saveexec_b64 s[0:1], s[4:5]
	s_cbranch_execz .LBB74_2
; %bb.1:
	v_bcnt_u32_b32 v0, v0, 0
	v_bcnt_u32_b32 v0, v1, v0
	ds_write_b32 v6, v0 offset:4
.LBB74_2:
	s_or_b64 exec, exec, s[0:1]
	; wave barrier
	s_waitcnt lgkmcnt(0)
	; wave barrier
	s_waitcnt lgkmcnt(0)
	ds_read_b32 v0, v3 offset:4
	v_and_b32_e32 v1, 15, v5
	v_cmp_ne_u32_e32 vcc, 0, v1
	s_waitcnt lgkmcnt(0)
	v_mov_b32_dpp v8, v0 row_shr:1 row_mask:0xf bank_mask:0xf
	v_cndmask_b32_e32 v8, 0, v8, vcc
	v_add_u32_e32 v0, v8, v0
	v_cmp_lt_u32_e32 vcc, 1, v1
	s_nop 0
	v_mov_b32_dpp v8, v0 row_shr:2 row_mask:0xf bank_mask:0xf
	v_cndmask_b32_e32 v8, 0, v8, vcc
	v_add_u32_e32 v0, v0, v8
	v_cmp_lt_u32_e32 vcc, 3, v1
	s_nop 0
	;; [unrolled: 5-line block ×3, first 2 shown]
	v_mov_b32_dpp v8, v0 row_shr:8 row_mask:0xf bank_mask:0xf
	v_cndmask_b32_e32 v1, 0, v8, vcc
	v_add_u32_e32 v0, v0, v1
	v_bfe_i32 v8, v5, 4, 1
	v_cmp_lt_u32_e32 vcc, 31, v5
	v_mov_b32_dpp v1, v0 row_bcast:15 row_mask:0xf bank_mask:0xf
	v_and_b32_e32 v1, v8, v1
	v_add_u32_e32 v0, v0, v1
	s_nop 1
	v_mov_b32_dpp v1, v0 row_bcast:31 row_mask:0xf bank_mask:0xf
	v_cndmask_b32_e32 v1, 0, v1, vcc
	v_add_u32_e32 v0, v0, v1
	v_cmp_eq_u32_e32 vcc, 63, v2
	s_and_saveexec_b64 s[0:1], vcc
	s_cbranch_execz .LBB74_4
; %bb.3:
	v_mov_b32_e32 v1, 0
	ds_write_b32 v1, v0
.LBB74_4:
	s_or_b64 exec, exec, s[0:1]
	v_add_u32_e32 v1, -1, v5
	v_and_b32_e32 v2, 64, v5
	v_cmp_lt_i32_e32 vcc, v1, v2
	v_cndmask_b32_e32 v1, v1, v5, vcc
	v_lshlrev_b32_e32 v1, 2, v1
	ds_bpermute_b32 v0, v1, v0
	v_cmp_ne_u32_e32 vcc, 0, v5
	s_waitcnt lgkmcnt(0)
	; wave barrier
	s_waitcnt lgkmcnt(0)
	s_add_u32 s0, s2, s6
	v_cndmask_b32_e32 v0, 0, v0, vcc
	ds_write_b32 v3, v0 offset:4
	s_waitcnt lgkmcnt(0)
	; wave barrier
	s_waitcnt lgkmcnt(0)
	ds_read_b32 v0, v6 offset:4
	s_waitcnt lgkmcnt(0)
	; wave barrier
	s_waitcnt lgkmcnt(0)
	s_addc_u32 s1, s3, s7
	v_add_u32_e32 v0, v0, v7
	ds_write_b32 v4, v0
	; wave barrier
	ds_read_b32 v0, v4
	s_waitcnt lgkmcnt(0)
	global_store_dword v3, v0, s[0:1]
	s_endpgm
	.section	.rodata,"a",@progbits
	.p2align	6, 0x0
	.amdhsa_kernel _Z11rank_kernelILj64ELj1ELj4ELb0EL18RadixRankAlgorithm2EjEvPKT4_Pijj
		.amdhsa_group_segment_fixed_size 272
		.amdhsa_private_segment_fixed_size 0
		.amdhsa_kernarg_size 280
		.amdhsa_user_sgpr_count 6
		.amdhsa_user_sgpr_private_segment_buffer 1
		.amdhsa_user_sgpr_dispatch_ptr 0
		.amdhsa_user_sgpr_queue_ptr 0
		.amdhsa_user_sgpr_kernarg_segment_ptr 1
		.amdhsa_user_sgpr_dispatch_id 0
		.amdhsa_user_sgpr_flat_scratch_init 0
		.amdhsa_user_sgpr_kernarg_preload_length 0
		.amdhsa_user_sgpr_kernarg_preload_offset 0
		.amdhsa_user_sgpr_private_segment_size 0
		.amdhsa_uses_dynamic_stack 0
		.amdhsa_system_sgpr_private_segment_wavefront_offset 0
		.amdhsa_system_sgpr_workgroup_id_x 1
		.amdhsa_system_sgpr_workgroup_id_y 0
		.amdhsa_system_sgpr_workgroup_id_z 0
		.amdhsa_system_sgpr_workgroup_info 0
		.amdhsa_system_vgpr_workitem_id 2
		.amdhsa_next_free_vgpr 12
		.amdhsa_next_free_sgpr 10
		.amdhsa_accum_offset 12
		.amdhsa_reserve_vcc 1
		.amdhsa_reserve_flat_scratch 0
		.amdhsa_float_round_mode_32 0
		.amdhsa_float_round_mode_16_64 0
		.amdhsa_float_denorm_mode_32 3
		.amdhsa_float_denorm_mode_16_64 3
		.amdhsa_dx10_clamp 1
		.amdhsa_ieee_mode 1
		.amdhsa_fp16_overflow 0
		.amdhsa_tg_split 0
		.amdhsa_exception_fp_ieee_invalid_op 0
		.amdhsa_exception_fp_denorm_src 0
		.amdhsa_exception_fp_ieee_div_zero 0
		.amdhsa_exception_fp_ieee_overflow 0
		.amdhsa_exception_fp_ieee_underflow 0
		.amdhsa_exception_fp_ieee_inexact 0
		.amdhsa_exception_int_div_zero 0
	.end_amdhsa_kernel
	.section	.text._Z11rank_kernelILj64ELj1ELj4ELb0EL18RadixRankAlgorithm2EjEvPKT4_Pijj,"axG",@progbits,_Z11rank_kernelILj64ELj1ELj4ELb0EL18RadixRankAlgorithm2EjEvPKT4_Pijj,comdat
.Lfunc_end74:
	.size	_Z11rank_kernelILj64ELj1ELj4ELb0EL18RadixRankAlgorithm2EjEvPKT4_Pijj, .Lfunc_end74-_Z11rank_kernelILj64ELj1ELj4ELb0EL18RadixRankAlgorithm2EjEvPKT4_Pijj
                                        ; -- End function
	.section	.AMDGPU.csdata,"",@progbits
; Kernel info:
; codeLenInByte = 756
; NumSgprs: 14
; NumVgprs: 12
; NumAgprs: 0
; TotalNumVgprs: 12
; ScratchSize: 0
; MemoryBound: 0
; FloatMode: 240
; IeeeMode: 1
; LDSByteSize: 272 bytes/workgroup (compile time only)
; SGPRBlocks: 1
; VGPRBlocks: 1
; NumSGPRsForWavesPerEU: 14
; NumVGPRsForWavesPerEU: 12
; AccumOffset: 12
; Occupancy: 8
; WaveLimiterHint : 0
; COMPUTE_PGM_RSRC2:SCRATCH_EN: 0
; COMPUTE_PGM_RSRC2:USER_SGPR: 6
; COMPUTE_PGM_RSRC2:TRAP_HANDLER: 0
; COMPUTE_PGM_RSRC2:TGID_X_EN: 1
; COMPUTE_PGM_RSRC2:TGID_Y_EN: 0
; COMPUTE_PGM_RSRC2:TGID_Z_EN: 0
; COMPUTE_PGM_RSRC2:TIDIG_COMP_CNT: 2
; COMPUTE_PGM_RSRC3_GFX90A:ACCUM_OFFSET: 2
; COMPUTE_PGM_RSRC3_GFX90A:TG_SPLIT: 0
	.text
	.p2alignl 6, 3212836864
	.fill 256, 4, 3212836864
	.type	__hip_cuid_de5b1d645550f65e,@object ; @__hip_cuid_de5b1d645550f65e
	.section	.bss,"aw",@nobits
	.globl	__hip_cuid_de5b1d645550f65e
__hip_cuid_de5b1d645550f65e:
	.byte	0                               ; 0x0
	.size	__hip_cuid_de5b1d645550f65e, 1

	.ident	"AMD clang version 19.0.0git (https://github.com/RadeonOpenCompute/llvm-project roc-6.4.0 25133 c7fe45cf4b819c5991fe208aaa96edf142730f1d)"
	.section	".note.GNU-stack","",@progbits
	.addrsig
	.addrsig_sym __hip_cuid_de5b1d645550f65e
	.amdgpu_metadata
---
amdhsa.kernels:
  - .agpr_count:     0
    .args:
      - .address_space:  global
        .offset:         0
        .size:           8
        .value_kind:     global_buffer
      - .address_space:  global
        .offset:         8
        .size:           8
        .value_kind:     global_buffer
      - .offset:         16
        .size:           4
        .value_kind:     by_value
      - .offset:         20
        .size:           4
        .value_kind:     by_value
    .group_segment_fixed_size: 6192
    .kernarg_segment_align: 8
    .kernarg_segment_size: 24
    .language:       OpenCL C
    .language_version:
      - 2
      - 0
    .max_flat_workgroup_size: 193
    .name:           _Z11rank_kernelILj193ELj2ELj4ELb1EL18RadixRankAlgorithm0E12hip_bfloat16EvPKT4_Pijj
    .private_segment_fixed_size: 0
    .sgpr_count:     17
    .sgpr_spill_count: 0
    .symbol:         _Z11rank_kernelILj193ELj2ELj4ELb1EL18RadixRankAlgorithm0E12hip_bfloat16EvPKT4_Pijj.kd
    .uniform_work_group_size: 1
    .uses_dynamic_stack: false
    .vgpr_count:     16
    .vgpr_spill_count: 0
    .wavefront_size: 64
  - .agpr_count:     0
    .args:
      - .address_space:  global
        .offset:         0
        .size:           8
        .value_kind:     global_buffer
      - .address_space:  global
        .offset:         8
        .size:           8
        .value_kind:     global_buffer
      - .offset:         16
        .size:           4
        .value_kind:     by_value
      - .offset:         20
        .size:           4
        .value_kind:     by_value
    .group_segment_fixed_size: 6192
    .kernarg_segment_align: 8
    .kernarg_segment_size: 24
    .language:       OpenCL C
    .language_version:
      - 2
      - 0
    .max_flat_workgroup_size: 193
    .name:           _Z11rank_kernelILj193ELj2ELj4ELb1EL18RadixRankAlgorithm0E6__halfEvPKT4_Pijj
    .private_segment_fixed_size: 0
    .sgpr_count:     17
    .sgpr_spill_count: 0
    .symbol:         _Z11rank_kernelILj193ELj2ELj4ELb1EL18RadixRankAlgorithm0E6__halfEvPKT4_Pijj.kd
    .uniform_work_group_size: 1
    .uses_dynamic_stack: false
    .vgpr_count:     16
    .vgpr_spill_count: 0
    .wavefront_size: 64
  - .agpr_count:     0
    .args:
      - .address_space:  global
        .offset:         0
        .size:           8
        .value_kind:     global_buffer
      - .address_space:  global
        .offset:         8
        .size:           8
        .value_kind:     global_buffer
      - .offset:         16
        .size:           4
        .value_kind:     by_value
      - .offset:         20
        .size:           4
        .value_kind:     by_value
    .group_segment_fixed_size: 20752
    .kernarg_segment_align: 8
    .kernarg_segment_size: 24
    .language:       OpenCL C
    .language_version:
      - 2
      - 0
    .max_flat_workgroup_size: 162
    .name:           _Z11rank_kernelILj162ELj2ELj6ELb1EL18RadixRankAlgorithm0EjEvPKT4_Pijj
    .private_segment_fixed_size: 0
    .sgpr_count:     15
    .sgpr_spill_count: 0
    .symbol:         _Z11rank_kernelILj162ELj2ELj6ELb1EL18RadixRankAlgorithm0EjEvPKT4_Pijj.kd
    .uniform_work_group_size: 1
    .uses_dynamic_stack: false
    .vgpr_count:     18
    .vgpr_spill_count: 0
    .wavefront_size: 64
  - .agpr_count:     0
    .args:
      - .address_space:  global
        .offset:         0
        .size:           8
        .value_kind:     global_buffer
      - .address_space:  global
        .offset:         8
        .size:           8
        .value_kind:     global_buffer
      - .offset:         16
        .size:           4
        .value_kind:     by_value
      - .offset:         20
        .size:           4
        .value_kind:     by_value
    .group_segment_fixed_size: 976
    .kernarg_segment_align: 8
    .kernarg_segment_size: 24
    .language:       OpenCL C
    .language_version:
      - 2
      - 0
    .max_flat_workgroup_size: 60
    .name:           _Z11rank_kernelILj60ELj1ELj3ELb1EL18RadixRankAlgorithm0EfEvPKT4_Pijj
    .private_segment_fixed_size: 0
    .sgpr_count:     20
    .sgpr_spill_count: 0
    .symbol:         _Z11rank_kernelILj60ELj1ELj3ELb1EL18RadixRankAlgorithm0EfEvPKT4_Pijj.kd
    .uniform_work_group_size: 1
    .uses_dynamic_stack: false
    .vgpr_count:     10
    .vgpr_spill_count: 0
    .wavefront_size: 64
  - .agpr_count:     0
    .args:
      - .address_space:  global
        .offset:         0
        .size:           8
        .value_kind:     global_buffer
      - .address_space:  global
        .offset:         8
        .size:           8
        .value_kind:     global_buffer
      - .offset:         16
        .size:           4
        .value_kind:     by_value
      - .offset:         20
        .size:           4
        .value_kind:     by_value
    .group_segment_fixed_size: 1648
    .kernarg_segment_align: 8
    .kernarg_segment_size: 24
    .language:       OpenCL C
    .language_version:
      - 2
      - 0
    .max_flat_workgroup_size: 102
    .name:           _Z11rank_kernelILj102ELj3ELj3ELb1EL18RadixRankAlgorithm0EtEvPKT4_Pijj
    .private_segment_fixed_size: 0
    .sgpr_count:     19
    .sgpr_spill_count: 0
    .symbol:         _Z11rank_kernelILj102ELj3ELj3ELb1EL18RadixRankAlgorithm0EtEvPKT4_Pijj.kd
    .uniform_work_group_size: 1
    .uses_dynamic_stack: false
    .vgpr_count:     16
    .vgpr_spill_count: 0
    .wavefront_size: 64
  - .agpr_count:     0
    .args:
      - .address_space:  global
        .offset:         0
        .size:           8
        .value_kind:     global_buffer
      - .address_space:  global
        .offset:         8
        .size:           8
        .value_kind:     global_buffer
      - .offset:         16
        .size:           4
        .value_kind:     by_value
      - .offset:         20
        .size:           4
        .value_kind:     by_value
    .group_segment_fixed_size: 4112
    .kernarg_segment_align: 8
    .kernarg_segment_size: 24
    .language:       OpenCL C
    .language_version:
      - 2
      - 0
    .max_flat_workgroup_size: 64
    .name:           _Z11rank_kernelILj64ELj1ELj5ELb0EL18RadixRankAlgorithm0EyEvPKT4_Pijj
    .private_segment_fixed_size: 0
    .sgpr_count:     15
    .sgpr_spill_count: 0
    .symbol:         _Z11rank_kernelILj64ELj1ELj5ELb0EL18RadixRankAlgorithm0EyEvPKT4_Pijj.kd
    .uniform_work_group_size: 1
    .uses_dynamic_stack: false
    .vgpr_count:     15
    .vgpr_spill_count: 0
    .wavefront_size: 64
  - .agpr_count:     0
    .args:
      - .address_space:  global
        .offset:         0
        .size:           8
        .value_kind:     global_buffer
      - .address_space:  global
        .offset:         8
        .size:           8
        .value_kind:     global_buffer
      - .offset:         16
        .size:           4
        .value_kind:     by_value
      - .offset:         20
        .size:           4
        .value_kind:     by_value
    .group_segment_fixed_size: 8432
    .kernarg_segment_align: 8
    .kernarg_segment_size: 24
    .language:       OpenCL C
    .language_version:
      - 2
      - 0
    .max_flat_workgroup_size: 234
    .name:           _Z11rank_kernelILj234ELj9ELj4ELb0EL18RadixRankAlgorithm0E12hip_bfloat16EvPKT4_Pijj
    .private_segment_fixed_size: 0
    .sgpr_count:     17
    .sgpr_spill_count: 0
    .symbol:         _Z11rank_kernelILj234ELj9ELj4ELb0EL18RadixRankAlgorithm0E12hip_bfloat16EvPKT4_Pijj.kd
    .uniform_work_group_size: 1
    .uses_dynamic_stack: false
    .vgpr_count:     30
    .vgpr_spill_count: 0
    .wavefront_size: 64
  - .agpr_count:     0
    .args:
      - .address_space:  global
        .offset:         0
        .size:           8
        .value_kind:     global_buffer
      - .address_space:  global
        .offset:         8
        .size:           8
        .value_kind:     global_buffer
      - .offset:         16
        .size:           4
        .value_kind:     by_value
      - .offset:         20
        .size:           4
        .value_kind:     by_value
    .group_segment_fixed_size: 8432
    .kernarg_segment_align: 8
    .kernarg_segment_size: 24
    .language:       OpenCL C
    .language_version:
      - 2
      - 0
    .max_flat_workgroup_size: 234
    .name:           _Z11rank_kernelILj234ELj9ELj4ELb0EL18RadixRankAlgorithm0E6__halfEvPKT4_Pijj
    .private_segment_fixed_size: 0
    .sgpr_count:     17
    .sgpr_spill_count: 0
    .symbol:         _Z11rank_kernelILj234ELj9ELj4ELb0EL18RadixRankAlgorithm0E6__halfEvPKT4_Pijj.kd
    .uniform_work_group_size: 1
    .uses_dynamic_stack: false
    .vgpr_count:     30
    .vgpr_spill_count: 0
    .wavefront_size: 64
  - .agpr_count:     0
    .args:
      - .address_space:  global
        .offset:         0
        .size:           8
        .value_kind:     global_buffer
      - .address_space:  global
        .offset:         8
        .size:           8
        .value_kind:     global_buffer
      - .offset:         16
        .size:           4
        .value_kind:     by_value
      - .offset:         20
        .size:           4
        .value_kind:     by_value
    .group_segment_fixed_size: 3216
    .kernarg_segment_align: 8
    .kernarg_segment_size: 24
    .language:       OpenCL C
    .language_version:
      - 2
      - 0
    .max_flat_workgroup_size: 100
    .name:           _Z11rank_kernelILj100ELj3ELj4ELb0EL18RadixRankAlgorithm0EtEvPKT4_Pijj
    .private_segment_fixed_size: 0
    .sgpr_count:     19
    .sgpr_spill_count: 0
    .symbol:         _Z11rank_kernelILj100ELj3ELj4ELb0EL18RadixRankAlgorithm0EtEvPKT4_Pijj.kd
    .uniform_work_group_size: 1
    .uses_dynamic_stack: false
    .vgpr_count:     18
    .vgpr_spill_count: 0
    .wavefront_size: 64
  - .agpr_count:     0
    .args:
      - .address_space:  global
        .offset:         0
        .size:           8
        .value_kind:     global_buffer
      - .address_space:  global
        .offset:         8
        .size:           8
        .value_kind:     global_buffer
      - .offset:         16
        .size:           4
        .value_kind:     by_value
      - .offset:         20
        .size:           4
        .value_kind:     by_value
    .group_segment_fixed_size: 14880
    .kernarg_segment_align: 8
    .kernarg_segment_size: 24
    .language:       OpenCL C
    .language_version:
      - 2
      - 0
    .max_flat_workgroup_size: 464
    .name:           _Z11rank_kernelILj464ELj2ELj4ELb1EL18RadixRankAlgorithm0EcEvPKT4_Pijj
    .private_segment_fixed_size: 0
    .sgpr_count:     17
    .sgpr_spill_count: 0
    .symbol:         _Z11rank_kernelILj464ELj2ELj4ELb1EL18RadixRankAlgorithm0EcEvPKT4_Pijj.kd
    .uniform_work_group_size: 1
    .uses_dynamic_stack: false
    .vgpr_count:     16
    .vgpr_spill_count: 0
    .wavefront_size: 64
  - .agpr_count:     0
    .args:
      - .address_space:  global
        .offset:         0
        .size:           8
        .value_kind:     global_buffer
      - .address_space:  global
        .offset:         8
        .size:           8
        .value_kind:     global_buffer
      - .offset:         16
        .size:           4
        .value_kind:     by_value
      - .offset:         20
        .size:           4
        .value_kind:     by_value
    .group_segment_fixed_size: 1328
    .kernarg_segment_align: 8
    .kernarg_segment_size: 24
    .language:       OpenCL C
    .language_version:
      - 2
      - 0
    .max_flat_workgroup_size: 33
    .name:           _Z11rank_kernelILj33ELj5ELj4ELb0EL18RadixRankAlgorithm0EdEvPKT4_Pijj
    .private_segment_fixed_size: 0
    .sgpr_count:     19
    .sgpr_spill_count: 0
    .symbol:         _Z11rank_kernelILj33ELj5ELj4ELb0EL18RadixRankAlgorithm0EdEvPKT4_Pijj.kd
    .uniform_work_group_size: 1
    .uses_dynamic_stack: false
    .vgpr_count:     24
    .vgpr_spill_count: 0
    .wavefront_size: 64
  - .agpr_count:     0
    .args:
      - .address_space:  global
        .offset:         0
        .size:           8
        .value_kind:     global_buffer
      - .address_space:  global
        .offset:         8
        .size:           8
        .value_kind:     global_buffer
      - .offset:         16
        .size:           4
        .value_kind:     by_value
      - .offset:         20
        .size:           4
        .value_kind:     by_value
    .group_segment_fixed_size: 16416
    .kernarg_segment_align: 8
    .kernarg_segment_size: 24
    .language:       OpenCL C
    .language_version:
      - 2
      - 0
    .max_flat_workgroup_size: 512
    .name:           _Z11rank_kernelILj512ELj2ELj4ELb0EL18RadixRankAlgorithm0EfEvPKT4_Pijj
    .private_segment_fixed_size: 0
    .sgpr_count:     16
    .sgpr_spill_count: 0
    .symbol:         _Z11rank_kernelILj512ELj2ELj4ELb0EL18RadixRankAlgorithm0EfEvPKT4_Pijj.kd
    .uniform_work_group_size: 1
    .uses_dynamic_stack: false
    .vgpr_count:     16
    .vgpr_spill_count: 0
    .wavefront_size: 64
  - .agpr_count:     0
    .args:
      - .address_space:  global
        .offset:         0
        .size:           8
        .value_kind:     global_buffer
      - .address_space:  global
        .offset:         8
        .size:           8
        .value_kind:     global_buffer
      - .offset:         16
        .size:           4
        .value_kind:     by_value
      - .offset:         20
        .size:           4
        .value_kind:     by_value
    .group_segment_fixed_size: 8208
    .kernarg_segment_align: 8
    .kernarg_segment_size: 24
    .language:       OpenCL C
    .language_version:
      - 2
      - 0
    .max_flat_workgroup_size: 256
    .name:           _Z11rank_kernelILj256ELj7ELj4ELb0EL18RadixRankAlgorithm0EtEvPKT4_Pijj
    .private_segment_fixed_size: 0
    .sgpr_count:     20
    .sgpr_spill_count: 0
    .symbol:         _Z11rank_kernelILj256ELj7ELj4ELb0EL18RadixRankAlgorithm0EtEvPKT4_Pijj.kd
    .uniform_work_group_size: 1
    .uses_dynamic_stack: false
    .vgpr_count:     26
    .vgpr_spill_count: 0
    .wavefront_size: 64
  - .agpr_count:     0
    .args:
      - .address_space:  global
        .offset:         0
        .size:           8
        .value_kind:     global_buffer
      - .address_space:  global
        .offset:         8
        .size:           8
        .value_kind:     global_buffer
      - .offset:         16
        .size:           4
        .value_kind:     by_value
      - .offset:         20
        .size:           4
        .value_kind:     by_value
    .group_segment_fixed_size: 4112
    .kernarg_segment_align: 8
    .kernarg_segment_size: 24
    .language:       OpenCL C
    .language_version:
      - 2
      - 0
    .max_flat_workgroup_size: 128
    .name:           _Z11rank_kernelILj128ELj4ELj4ELb0EL18RadixRankAlgorithm0EiEvPKT4_Pijj
    .private_segment_fixed_size: 0
    .sgpr_count:     20
    .sgpr_spill_count: 0
    .symbol:         _Z11rank_kernelILj128ELj4ELj4ELb0EL18RadixRankAlgorithm0EiEvPKT4_Pijj.kd
    .uniform_work_group_size: 1
    .uses_dynamic_stack: false
    .vgpr_count:     20
    .vgpr_spill_count: 0
    .wavefront_size: 64
  - .agpr_count:     0
    .args:
      - .address_space:  global
        .offset:         0
        .size:           8
        .value_kind:     global_buffer
      - .address_space:  global
        .offset:         8
        .size:           8
        .value_kind:     global_buffer
      - .offset:         16
        .size:           4
        .value_kind:     by_value
      - .offset:         20
        .size:           4
        .value_kind:     by_value
    .group_segment_fixed_size: 2064
    .kernarg_segment_align: 8
    .kernarg_segment_size: 24
    .language:       OpenCL C
    .language_version:
      - 2
      - 0
    .max_flat_workgroup_size: 64
    .name:           _Z11rank_kernelILj64ELj2ELj4ELb1EL18RadixRankAlgorithm0EyEvPKT4_Pijj
    .private_segment_fixed_size: 0
    .sgpr_count:     22
    .sgpr_spill_count: 0
    .symbol:         _Z11rank_kernelILj64ELj2ELj4ELb1EL18RadixRankAlgorithm0EyEvPKT4_Pijj.kd
    .uniform_work_group_size: 1
    .uses_dynamic_stack: false
    .vgpr_count:     16
    .vgpr_spill_count: 0
    .wavefront_size: 64
  - .agpr_count:     0
    .args:
      - .address_space:  global
        .offset:         0
        .size:           8
        .value_kind:     global_buffer
      - .address_space:  global
        .offset:         8
        .size:           8
        .value_kind:     global_buffer
      - .offset:         16
        .size:           4
        .value_kind:     by_value
      - .offset:         20
        .size:           4
        .value_kind:     by_value
    .group_segment_fixed_size: 8176
    .kernarg_segment_align: 8
    .kernarg_segment_size: 24
    .language:       OpenCL C
    .language_version:
      - 2
      - 0
    .max_flat_workgroup_size: 255
    .name:           _Z11rank_kernelILj255ELj1ELj4ELb0EL18RadixRankAlgorithm0EhEvPKT4_Pijj
    .private_segment_fixed_size: 0
    .sgpr_count:     17
    .sgpr_spill_count: 0
    .symbol:         _Z11rank_kernelILj255ELj1ELj4ELb0EL18RadixRankAlgorithm0EhEvPKT4_Pijj.kd
    .uniform_work_group_size: 1
    .uses_dynamic_stack: false
    .vgpr_count:     12
    .vgpr_spill_count: 0
    .wavefront_size: 64
  - .agpr_count:     0
    .args:
      - .address_space:  global
        .offset:         0
        .size:           8
        .value_kind:     global_buffer
      - .address_space:  global
        .offset:         8
        .size:           8
        .value_kind:     global_buffer
      - .offset:         16
        .size:           4
        .value_kind:     by_value
      - .offset:         20
        .size:           4
        .value_kind:     by_value
    .group_segment_fixed_size: 5200
    .kernarg_segment_align: 8
    .kernarg_segment_size: 24
    .language:       OpenCL C
    .language_version:
      - 2
      - 0
    .max_flat_workgroup_size: 162
    .name:           _Z11rank_kernelILj162ELj1ELj4ELb0EL18RadixRankAlgorithm0EjEvPKT4_Pijj
    .private_segment_fixed_size: 0
    .sgpr_count:     18
    .sgpr_spill_count: 0
    .symbol:         _Z11rank_kernelILj162ELj1ELj4ELb0EL18RadixRankAlgorithm0EjEvPKT4_Pijj.kd
    .uniform_work_group_size: 1
    .uses_dynamic_stack: false
    .vgpr_count:     12
    .vgpr_spill_count: 0
    .wavefront_size: 64
  - .agpr_count:     0
    .args:
      - .address_space:  global
        .offset:         0
        .size:           8
        .value_kind:     global_buffer
      - .address_space:  global
        .offset:         8
        .size:           8
        .value_kind:     global_buffer
      - .offset:         16
        .size:           4
        .value_kind:     by_value
      - .offset:         20
        .size:           4
        .value_kind:     by_value
    .group_segment_fixed_size: 16352
    .kernarg_segment_align: 8
    .kernarg_segment_size: 24
    .language:       OpenCL C
    .language_version:
      - 2
      - 0
    .max_flat_workgroup_size: 510
    .name:           _Z11rank_kernelILj510ELj1ELj4ELb1EL18RadixRankAlgorithm0ExEvPKT4_Pijj
    .private_segment_fixed_size: 0
    .sgpr_count:     17
    .sgpr_spill_count: 0
    .symbol:         _Z11rank_kernelILj510ELj1ELj4ELb1EL18RadixRankAlgorithm0ExEvPKT4_Pijj.kd
    .uniform_work_group_size: 1
    .uses_dynamic_stack: false
    .vgpr_count:     12
    .vgpr_spill_count: 0
    .wavefront_size: 64
  - .agpr_count:     0
    .args:
      - .address_space:  global
        .offset:         0
        .size:           8
        .value_kind:     global_buffer
      - .address_space:  global
        .offset:         8
        .size:           8
        .value_kind:     global_buffer
      - .offset:         16
        .size:           4
        .value_kind:     by_value
      - .offset:         20
        .size:           4
        .value_kind:     by_value
    .group_segment_fixed_size: 1200
    .kernarg_segment_align: 8
    .kernarg_segment_size: 24
    .language:       OpenCL C
    .language_version:
      - 2
      - 0
    .max_flat_workgroup_size: 37
    .name:           _Z11rank_kernelILj37ELj1ELj4ELb0EL18RadixRankAlgorithm0EfEvPKT4_Pijj
    .private_segment_fixed_size: 0
    .sgpr_count:     20
    .sgpr_spill_count: 0
    .symbol:         _Z11rank_kernelILj37ELj1ELj4ELb0EL18RadixRankAlgorithm0EfEvPKT4_Pijj.kd
    .uniform_work_group_size: 1
    .uses_dynamic_stack: false
    .vgpr_count:     14
    .vgpr_spill_count: 0
    .wavefront_size: 64
  - .agpr_count:     0
    .args:
      - .address_space:  global
        .offset:         0
        .size:           8
        .value_kind:     global_buffer
      - .address_space:  global
        .offset:         8
        .size:           8
        .value_kind:     global_buffer
      - .offset:         16
        .size:           4
        .value_kind:     by_value
      - .offset:         20
        .size:           4
        .value_kind:     by_value
    .group_segment_fixed_size: 2096
    .kernarg_segment_align: 8
    .kernarg_segment_size: 24
    .language:       OpenCL C
    .language_version:
      - 2
      - 0
    .max_flat_workgroup_size: 65
    .name:           _Z11rank_kernelILj65ELj1ELj4ELb0EL18RadixRankAlgorithm0EdEvPKT4_Pijj
    .private_segment_fixed_size: 0
    .sgpr_count:     19
    .sgpr_spill_count: 0
    .symbol:         _Z11rank_kernelILj65ELj1ELj4ELb0EL18RadixRankAlgorithm0EdEvPKT4_Pijj.kd
    .uniform_work_group_size: 1
    .uses_dynamic_stack: false
    .vgpr_count:     12
    .vgpr_spill_count: 0
    .wavefront_size: 64
  - .agpr_count:     0
    .args:
      - .address_space:  global
        .offset:         0
        .size:           8
        .value_kind:     global_buffer
      - .address_space:  global
        .offset:         8
        .size:           8
        .value_kind:     global_buffer
      - .offset:         16
        .size:           4
        .value_kind:     by_value
      - .offset:         20
        .size:           4
        .value_kind:     by_value
    .group_segment_fixed_size: 16416
    .kernarg_segment_align: 8
    .kernarg_segment_size: 24
    .language:       OpenCL C
    .language_version:
      - 2
      - 0
    .max_flat_workgroup_size: 512
    .name:           _Z11rank_kernelILj512ELj1ELj4ELb1EL18RadixRankAlgorithm0EtEvPKT4_Pijj
    .private_segment_fixed_size: 0
    .sgpr_count:     16
    .sgpr_spill_count: 0
    .symbol:         _Z11rank_kernelILj512ELj1ELj4ELb1EL18RadixRankAlgorithm0EtEvPKT4_Pijj.kd
    .uniform_work_group_size: 1
    .uses_dynamic_stack: false
    .vgpr_count:     14
    .vgpr_spill_count: 0
    .wavefront_size: 64
  - .agpr_count:     0
    .args:
      - .address_space:  global
        .offset:         0
        .size:           8
        .value_kind:     global_buffer
      - .address_space:  global
        .offset:         8
        .size:           8
        .value_kind:     global_buffer
      - .offset:         16
        .size:           4
        .value_kind:     by_value
      - .offset:         20
        .size:           4
        .value_kind:     by_value
    .group_segment_fixed_size: 8208
    .kernarg_segment_align: 8
    .kernarg_segment_size: 24
    .language:       OpenCL C
    .language_version:
      - 2
      - 0
    .max_flat_workgroup_size: 256
    .name:           _Z11rank_kernelILj256ELj1ELj4ELb0EL18RadixRankAlgorithm0EfEvPKT4_Pijj
    .private_segment_fixed_size: 0
    .sgpr_count:     20
    .sgpr_spill_count: 0
    .symbol:         _Z11rank_kernelILj256ELj1ELj4ELb0EL18RadixRankAlgorithm0EfEvPKT4_Pijj.kd
    .uniform_work_group_size: 1
    .uses_dynamic_stack: false
    .vgpr_count:     12
    .vgpr_spill_count: 0
    .wavefront_size: 64
  - .agpr_count:     0
    .args:
      - .address_space:  global
        .offset:         0
        .size:           8
        .value_kind:     global_buffer
      - .address_space:  global
        .offset:         8
        .size:           8
        .value_kind:     global_buffer
      - .offset:         16
        .size:           4
        .value_kind:     by_value
      - .offset:         20
        .size:           4
        .value_kind:     by_value
    .group_segment_fixed_size: 4112
    .kernarg_segment_align: 8
    .kernarg_segment_size: 24
    .language:       OpenCL C
    .language_version:
      - 2
      - 0
    .max_flat_workgroup_size: 128
    .name:           _Z11rank_kernelILj128ELj1ELj4ELb0EL18RadixRankAlgorithm0E12hip_bfloat16EvPKT4_Pijj
    .private_segment_fixed_size: 0
    .sgpr_count:     20
    .sgpr_spill_count: 0
    .symbol:         _Z11rank_kernelILj128ELj1ELj4ELb0EL18RadixRankAlgorithm0E12hip_bfloat16EvPKT4_Pijj.kd
    .uniform_work_group_size: 1
    .uses_dynamic_stack: false
    .vgpr_count:     12
    .vgpr_spill_count: 0
    .wavefront_size: 64
  - .agpr_count:     0
    .args:
      - .address_space:  global
        .offset:         0
        .size:           8
        .value_kind:     global_buffer
      - .address_space:  global
        .offset:         8
        .size:           8
        .value_kind:     global_buffer
      - .offset:         16
        .size:           4
        .value_kind:     by_value
      - .offset:         20
        .size:           4
        .value_kind:     by_value
    .group_segment_fixed_size: 4112
    .kernarg_segment_align: 8
    .kernarg_segment_size: 24
    .language:       OpenCL C
    .language_version:
      - 2
      - 0
    .max_flat_workgroup_size: 128
    .name:           _Z11rank_kernelILj128ELj1ELj4ELb0EL18RadixRankAlgorithm0E6__halfEvPKT4_Pijj
    .private_segment_fixed_size: 0
    .sgpr_count:     20
    .sgpr_spill_count: 0
    .symbol:         _Z11rank_kernelILj128ELj1ELj4ELb0EL18RadixRankAlgorithm0E6__halfEvPKT4_Pijj.kd
    .uniform_work_group_size: 1
    .uses_dynamic_stack: false
    .vgpr_count:     12
    .vgpr_spill_count: 0
    .wavefront_size: 64
  - .agpr_count:     0
    .args:
      - .address_space:  global
        .offset:         0
        .size:           8
        .value_kind:     global_buffer
      - .address_space:  global
        .offset:         8
        .size:           8
        .value_kind:     global_buffer
      - .offset:         16
        .size:           4
        .value_kind:     by_value
      - .offset:         20
        .size:           4
        .value_kind:     by_value
    .group_segment_fixed_size: 2064
    .kernarg_segment_align: 8
    .kernarg_segment_size: 24
    .language:       OpenCL C
    .language_version:
      - 2
      - 0
    .max_flat_workgroup_size: 64
    .name:           _Z11rank_kernelILj64ELj1ELj4ELb0EL18RadixRankAlgorithm0EjEvPKT4_Pijj
    .private_segment_fixed_size: 0
    .sgpr_count:     22
    .sgpr_spill_count: 0
    .symbol:         _Z11rank_kernelILj64ELj1ELj4ELb0EL18RadixRankAlgorithm0EjEvPKT4_Pijj.kd
    .uniform_work_group_size: 1
    .uses_dynamic_stack: false
    .vgpr_count:     14
    .vgpr_spill_count: 0
    .wavefront_size: 64
  - .agpr_count:     0
    .args:
      - .address_space:  global
        .offset:         0
        .size:           8
        .value_kind:     global_buffer
      - .address_space:  global
        .offset:         8
        .size:           8
        .value_kind:     global_buffer
      - .offset:         16
        .size:           4
        .value_kind:     by_value
      - .offset:         20
        .size:           4
        .value_kind:     by_value
    .group_segment_fixed_size: 6192
    .kernarg_segment_align: 8
    .kernarg_segment_size: 24
    .language:       OpenCL C
    .language_version:
      - 2
      - 0
    .max_flat_workgroup_size: 193
    .name:           _Z11rank_kernelILj193ELj2ELj4ELb1EL18RadixRankAlgorithm1E12hip_bfloat16EvPKT4_Pijj
    .private_segment_fixed_size: 0
    .sgpr_count:     17
    .sgpr_spill_count: 0
    .symbol:         _Z11rank_kernelILj193ELj2ELj4ELb1EL18RadixRankAlgorithm1E12hip_bfloat16EvPKT4_Pijj.kd
    .uniform_work_group_size: 1
    .uses_dynamic_stack: false
    .vgpr_count:     21
    .vgpr_spill_count: 0
    .wavefront_size: 64
  - .agpr_count:     0
    .args:
      - .address_space:  global
        .offset:         0
        .size:           8
        .value_kind:     global_buffer
      - .address_space:  global
        .offset:         8
        .size:           8
        .value_kind:     global_buffer
      - .offset:         16
        .size:           4
        .value_kind:     by_value
      - .offset:         20
        .size:           4
        .value_kind:     by_value
    .group_segment_fixed_size: 6192
    .kernarg_segment_align: 8
    .kernarg_segment_size: 24
    .language:       OpenCL C
    .language_version:
      - 2
      - 0
    .max_flat_workgroup_size: 193
    .name:           _Z11rank_kernelILj193ELj2ELj4ELb1EL18RadixRankAlgorithm1E6__halfEvPKT4_Pijj
    .private_segment_fixed_size: 0
    .sgpr_count:     17
    .sgpr_spill_count: 0
    .symbol:         _Z11rank_kernelILj193ELj2ELj4ELb1EL18RadixRankAlgorithm1E6__halfEvPKT4_Pijj.kd
    .uniform_work_group_size: 1
    .uses_dynamic_stack: false
    .vgpr_count:     21
    .vgpr_spill_count: 0
    .wavefront_size: 64
  - .agpr_count:     0
    .args:
      - .address_space:  global
        .offset:         0
        .size:           8
        .value_kind:     global_buffer
      - .address_space:  global
        .offset:         8
        .size:           8
        .value_kind:     global_buffer
      - .offset:         16
        .size:           4
        .value_kind:     by_value
      - .offset:         20
        .size:           4
        .value_kind:     by_value
    .group_segment_fixed_size: 20752
    .kernarg_segment_align: 8
    .kernarg_segment_size: 24
    .language:       OpenCL C
    .language_version:
      - 2
      - 0
    .max_flat_workgroup_size: 162
    .name:           _Z11rank_kernelILj162ELj2ELj6ELb1EL18RadixRankAlgorithm1EjEvPKT4_Pijj
    .private_segment_fixed_size: 0
    .sgpr_count:     15
    .sgpr_spill_count: 0
    .symbol:         _Z11rank_kernelILj162ELj2ELj6ELb1EL18RadixRankAlgorithm1EjEvPKT4_Pijj.kd
    .uniform_work_group_size: 1
    .uses_dynamic_stack: false
    .vgpr_count:     45
    .vgpr_spill_count: 0
    .wavefront_size: 64
  - .agpr_count:     0
    .args:
      - .address_space:  global
        .offset:         0
        .size:           8
        .value_kind:     global_buffer
      - .address_space:  global
        .offset:         8
        .size:           8
        .value_kind:     global_buffer
      - .offset:         16
        .size:           4
        .value_kind:     by_value
      - .offset:         20
        .size:           4
        .value_kind:     by_value
    .group_segment_fixed_size: 976
    .kernarg_segment_align: 8
    .kernarg_segment_size: 24
    .language:       OpenCL C
    .language_version:
      - 2
      - 0
    .max_flat_workgroup_size: 60
    .name:           _Z11rank_kernelILj60ELj1ELj3ELb1EL18RadixRankAlgorithm1EfEvPKT4_Pijj
    .private_segment_fixed_size: 0
    .sgpr_count:     20
    .sgpr_spill_count: 0
    .symbol:         _Z11rank_kernelILj60ELj1ELj3ELb1EL18RadixRankAlgorithm1EfEvPKT4_Pijj.kd
    .uniform_work_group_size: 1
    .uses_dynamic_stack: false
    .vgpr_count:     12
    .vgpr_spill_count: 0
    .wavefront_size: 64
  - .agpr_count:     0
    .args:
      - .address_space:  global
        .offset:         0
        .size:           8
        .value_kind:     global_buffer
      - .address_space:  global
        .offset:         8
        .size:           8
        .value_kind:     global_buffer
      - .offset:         16
        .size:           4
        .value_kind:     by_value
      - .offset:         20
        .size:           4
        .value_kind:     by_value
    .group_segment_fixed_size: 1648
    .kernarg_segment_align: 8
    .kernarg_segment_size: 24
    .language:       OpenCL C
    .language_version:
      - 2
      - 0
    .max_flat_workgroup_size: 102
    .name:           _Z11rank_kernelILj102ELj3ELj3ELb1EL18RadixRankAlgorithm1EtEvPKT4_Pijj
    .private_segment_fixed_size: 0
    .sgpr_count:     19
    .sgpr_spill_count: 0
    .symbol:         _Z11rank_kernelILj102ELj3ELj3ELb1EL18RadixRankAlgorithm1EtEvPKT4_Pijj.kd
    .uniform_work_group_size: 1
    .uses_dynamic_stack: false
    .vgpr_count:     19
    .vgpr_spill_count: 0
    .wavefront_size: 64
  - .agpr_count:     0
    .args:
      - .address_space:  global
        .offset:         0
        .size:           8
        .value_kind:     global_buffer
      - .address_space:  global
        .offset:         8
        .size:           8
        .value_kind:     global_buffer
      - .offset:         16
        .size:           4
        .value_kind:     by_value
      - .offset:         20
        .size:           4
        .value_kind:     by_value
    .group_segment_fixed_size: 4112
    .kernarg_segment_align: 8
    .kernarg_segment_size: 24
    .language:       OpenCL C
    .language_version:
      - 2
      - 0
    .max_flat_workgroup_size: 64
    .name:           _Z11rank_kernelILj64ELj1ELj5ELb0EL18RadixRankAlgorithm1EyEvPKT4_Pijj
    .private_segment_fixed_size: 0
    .sgpr_count:     15
    .sgpr_spill_count: 0
    .symbol:         _Z11rank_kernelILj64ELj1ELj5ELb0EL18RadixRankAlgorithm1EyEvPKT4_Pijj.kd
    .uniform_work_group_size: 1
    .uses_dynamic_stack: false
    .vgpr_count:     23
    .vgpr_spill_count: 0
    .wavefront_size: 64
  - .agpr_count:     0
    .args:
      - .address_space:  global
        .offset:         0
        .size:           8
        .value_kind:     global_buffer
      - .address_space:  global
        .offset:         8
        .size:           8
        .value_kind:     global_buffer
      - .offset:         16
        .size:           4
        .value_kind:     by_value
      - .offset:         20
        .size:           4
        .value_kind:     by_value
    .group_segment_fixed_size: 8432
    .kernarg_segment_align: 8
    .kernarg_segment_size: 24
    .language:       OpenCL C
    .language_version:
      - 2
      - 0
    .max_flat_workgroup_size: 234
    .name:           _Z11rank_kernelILj234ELj9ELj4ELb0EL18RadixRankAlgorithm1E12hip_bfloat16EvPKT4_Pijj
    .private_segment_fixed_size: 0
    .sgpr_count:     17
    .sgpr_spill_count: 0
    .symbol:         _Z11rank_kernelILj234ELj9ELj4ELb0EL18RadixRankAlgorithm1E12hip_bfloat16EvPKT4_Pijj.kd
    .uniform_work_group_size: 1
    .uses_dynamic_stack: false
    .vgpr_count:     35
    .vgpr_spill_count: 0
    .wavefront_size: 64
  - .agpr_count:     0
    .args:
      - .address_space:  global
        .offset:         0
        .size:           8
        .value_kind:     global_buffer
      - .address_space:  global
        .offset:         8
        .size:           8
        .value_kind:     global_buffer
      - .offset:         16
        .size:           4
        .value_kind:     by_value
      - .offset:         20
        .size:           4
        .value_kind:     by_value
    .group_segment_fixed_size: 8432
    .kernarg_segment_align: 8
    .kernarg_segment_size: 24
    .language:       OpenCL C
    .language_version:
      - 2
      - 0
    .max_flat_workgroup_size: 234
    .name:           _Z11rank_kernelILj234ELj9ELj4ELb0EL18RadixRankAlgorithm1E6__halfEvPKT4_Pijj
    .private_segment_fixed_size: 0
    .sgpr_count:     17
    .sgpr_spill_count: 0
    .symbol:         _Z11rank_kernelILj234ELj9ELj4ELb0EL18RadixRankAlgorithm1E6__halfEvPKT4_Pijj.kd
    .uniform_work_group_size: 1
    .uses_dynamic_stack: false
    .vgpr_count:     35
    .vgpr_spill_count: 0
    .wavefront_size: 64
  - .agpr_count:     0
    .args:
      - .address_space:  global
        .offset:         0
        .size:           8
        .value_kind:     global_buffer
      - .address_space:  global
        .offset:         8
        .size:           8
        .value_kind:     global_buffer
      - .offset:         16
        .size:           4
        .value_kind:     by_value
      - .offset:         20
        .size:           4
        .value_kind:     by_value
    .group_segment_fixed_size: 3216
    .kernarg_segment_align: 8
    .kernarg_segment_size: 24
    .language:       OpenCL C
    .language_version:
      - 2
      - 0
    .max_flat_workgroup_size: 100
    .name:           _Z11rank_kernelILj100ELj3ELj4ELb0EL18RadixRankAlgorithm1EtEvPKT4_Pijj
    .private_segment_fixed_size: 0
    .sgpr_count:     19
    .sgpr_spill_count: 0
    .symbol:         _Z11rank_kernelILj100ELj3ELj4ELb0EL18RadixRankAlgorithm1EtEvPKT4_Pijj.kd
    .uniform_work_group_size: 1
    .uses_dynamic_stack: false
    .vgpr_count:     23
    .vgpr_spill_count: 0
    .wavefront_size: 64
  - .agpr_count:     0
    .args:
      - .address_space:  global
        .offset:         0
        .size:           8
        .value_kind:     global_buffer
      - .address_space:  global
        .offset:         8
        .size:           8
        .value_kind:     global_buffer
      - .offset:         16
        .size:           4
        .value_kind:     by_value
      - .offset:         20
        .size:           4
        .value_kind:     by_value
    .group_segment_fixed_size: 14880
    .kernarg_segment_align: 8
    .kernarg_segment_size: 24
    .language:       OpenCL C
    .language_version:
      - 2
      - 0
    .max_flat_workgroup_size: 464
    .name:           _Z11rank_kernelILj464ELj2ELj4ELb1EL18RadixRankAlgorithm1EcEvPKT4_Pijj
    .private_segment_fixed_size: 0
    .sgpr_count:     17
    .sgpr_spill_count: 0
    .symbol:         _Z11rank_kernelILj464ELj2ELj4ELb1EL18RadixRankAlgorithm1EcEvPKT4_Pijj.kd
    .uniform_work_group_size: 1
    .uses_dynamic_stack: false
    .vgpr_count:     21
    .vgpr_spill_count: 0
    .wavefront_size: 64
  - .agpr_count:     0
    .args:
      - .address_space:  global
        .offset:         0
        .size:           8
        .value_kind:     global_buffer
      - .address_space:  global
        .offset:         8
        .size:           8
        .value_kind:     global_buffer
      - .offset:         16
        .size:           4
        .value_kind:     by_value
      - .offset:         20
        .size:           4
        .value_kind:     by_value
    .group_segment_fixed_size: 1328
    .kernarg_segment_align: 8
    .kernarg_segment_size: 24
    .language:       OpenCL C
    .language_version:
      - 2
      - 0
    .max_flat_workgroup_size: 33
    .name:           _Z11rank_kernelILj33ELj5ELj4ELb0EL18RadixRankAlgorithm1EdEvPKT4_Pijj
    .private_segment_fixed_size: 0
    .sgpr_count:     19
    .sgpr_spill_count: 0
    .symbol:         _Z11rank_kernelILj33ELj5ELj4ELb0EL18RadixRankAlgorithm1EdEvPKT4_Pijj.kd
    .uniform_work_group_size: 1
    .uses_dynamic_stack: false
    .vgpr_count:     24
    .vgpr_spill_count: 0
    .wavefront_size: 64
  - .agpr_count:     0
    .args:
      - .address_space:  global
        .offset:         0
        .size:           8
        .value_kind:     global_buffer
      - .address_space:  global
        .offset:         8
        .size:           8
        .value_kind:     global_buffer
      - .offset:         16
        .size:           4
        .value_kind:     by_value
      - .offset:         20
        .size:           4
        .value_kind:     by_value
    .group_segment_fixed_size: 16416
    .kernarg_segment_align: 8
    .kernarg_segment_size: 24
    .language:       OpenCL C
    .language_version:
      - 2
      - 0
    .max_flat_workgroup_size: 512
    .name:           _Z11rank_kernelILj512ELj2ELj4ELb0EL18RadixRankAlgorithm1EfEvPKT4_Pijj
    .private_segment_fixed_size: 0
    .sgpr_count:     16
    .sgpr_spill_count: 0
    .symbol:         _Z11rank_kernelILj512ELj2ELj4ELb0EL18RadixRankAlgorithm1EfEvPKT4_Pijj.kd
    .uniform_work_group_size: 1
    .uses_dynamic_stack: false
    .vgpr_count:     21
    .vgpr_spill_count: 0
    .wavefront_size: 64
  - .agpr_count:     0
    .args:
      - .address_space:  global
        .offset:         0
        .size:           8
        .value_kind:     global_buffer
      - .address_space:  global
        .offset:         8
        .size:           8
        .value_kind:     global_buffer
      - .offset:         16
        .size:           4
        .value_kind:     by_value
      - .offset:         20
        .size:           4
        .value_kind:     by_value
    .group_segment_fixed_size: 8208
    .kernarg_segment_align: 8
    .kernarg_segment_size: 24
    .language:       OpenCL C
    .language_version:
      - 2
      - 0
    .max_flat_workgroup_size: 256
    .name:           _Z11rank_kernelILj256ELj7ELj4ELb0EL18RadixRankAlgorithm1EtEvPKT4_Pijj
    .private_segment_fixed_size: 0
    .sgpr_count:     20
    .sgpr_spill_count: 0
    .symbol:         _Z11rank_kernelILj256ELj7ELj4ELb0EL18RadixRankAlgorithm1EtEvPKT4_Pijj.kd
    .uniform_work_group_size: 1
    .uses_dynamic_stack: false
    .vgpr_count:     31
    .vgpr_spill_count: 0
    .wavefront_size: 64
  - .agpr_count:     0
    .args:
      - .address_space:  global
        .offset:         0
        .size:           8
        .value_kind:     global_buffer
      - .address_space:  global
        .offset:         8
        .size:           8
        .value_kind:     global_buffer
      - .offset:         16
        .size:           4
        .value_kind:     by_value
      - .offset:         20
        .size:           4
        .value_kind:     by_value
    .group_segment_fixed_size: 4112
    .kernarg_segment_align: 8
    .kernarg_segment_size: 24
    .language:       OpenCL C
    .language_version:
      - 2
      - 0
    .max_flat_workgroup_size: 128
    .name:           _Z11rank_kernelILj128ELj4ELj4ELb0EL18RadixRankAlgorithm1EiEvPKT4_Pijj
    .private_segment_fixed_size: 0
    .sgpr_count:     20
    .sgpr_spill_count: 0
    .symbol:         _Z11rank_kernelILj128ELj4ELj4ELb0EL18RadixRankAlgorithm1EiEvPKT4_Pijj.kd
    .uniform_work_group_size: 1
    .uses_dynamic_stack: false
    .vgpr_count:     24
    .vgpr_spill_count: 0
    .wavefront_size: 64
  - .agpr_count:     0
    .args:
      - .address_space:  global
        .offset:         0
        .size:           8
        .value_kind:     global_buffer
      - .address_space:  global
        .offset:         8
        .size:           8
        .value_kind:     global_buffer
      - .offset:         16
        .size:           4
        .value_kind:     by_value
      - .offset:         20
        .size:           4
        .value_kind:     by_value
    .group_segment_fixed_size: 2064
    .kernarg_segment_align: 8
    .kernarg_segment_size: 24
    .language:       OpenCL C
    .language_version:
      - 2
      - 0
    .max_flat_workgroup_size: 64
    .name:           _Z11rank_kernelILj64ELj2ELj4ELb1EL18RadixRankAlgorithm1EyEvPKT4_Pijj
    .private_segment_fixed_size: 0
    .sgpr_count:     22
    .sgpr_spill_count: 0
    .symbol:         _Z11rank_kernelILj64ELj2ELj4ELb1EL18RadixRankAlgorithm1EyEvPKT4_Pijj.kd
    .uniform_work_group_size: 1
    .uses_dynamic_stack: false
    .vgpr_count:     18
    .vgpr_spill_count: 0
    .wavefront_size: 64
  - .agpr_count:     0
    .args:
      - .address_space:  global
        .offset:         0
        .size:           8
        .value_kind:     global_buffer
      - .address_space:  global
        .offset:         8
        .size:           8
        .value_kind:     global_buffer
      - .offset:         16
        .size:           4
        .value_kind:     by_value
      - .offset:         20
        .size:           4
        .value_kind:     by_value
    .group_segment_fixed_size: 8176
    .kernarg_segment_align: 8
    .kernarg_segment_size: 24
    .language:       OpenCL C
    .language_version:
      - 2
      - 0
    .max_flat_workgroup_size: 255
    .name:           _Z11rank_kernelILj255ELj1ELj4ELb0EL18RadixRankAlgorithm1EhEvPKT4_Pijj
    .private_segment_fixed_size: 0
    .sgpr_count:     17
    .sgpr_spill_count: 0
    .symbol:         _Z11rank_kernelILj255ELj1ELj4ELb0EL18RadixRankAlgorithm1EhEvPKT4_Pijj.kd
    .uniform_work_group_size: 1
    .uses_dynamic_stack: false
    .vgpr_count:     18
    .vgpr_spill_count: 0
    .wavefront_size: 64
  - .agpr_count:     0
    .args:
      - .address_space:  global
        .offset:         0
        .size:           8
        .value_kind:     global_buffer
      - .address_space:  global
        .offset:         8
        .size:           8
        .value_kind:     global_buffer
      - .offset:         16
        .size:           4
        .value_kind:     by_value
      - .offset:         20
        .size:           4
        .value_kind:     by_value
    .group_segment_fixed_size: 5200
    .kernarg_segment_align: 8
    .kernarg_segment_size: 24
    .language:       OpenCL C
    .language_version:
      - 2
      - 0
    .max_flat_workgroup_size: 162
    .name:           _Z11rank_kernelILj162ELj1ELj4ELb0EL18RadixRankAlgorithm1EjEvPKT4_Pijj
    .private_segment_fixed_size: 0
    .sgpr_count:     18
    .sgpr_spill_count: 0
    .symbol:         _Z11rank_kernelILj162ELj1ELj4ELb0EL18RadixRankAlgorithm1EjEvPKT4_Pijj.kd
    .uniform_work_group_size: 1
    .uses_dynamic_stack: false
    .vgpr_count:     18
    .vgpr_spill_count: 0
    .wavefront_size: 64
  - .agpr_count:     0
    .args:
      - .address_space:  global
        .offset:         0
        .size:           8
        .value_kind:     global_buffer
      - .address_space:  global
        .offset:         8
        .size:           8
        .value_kind:     global_buffer
      - .offset:         16
        .size:           4
        .value_kind:     by_value
      - .offset:         20
        .size:           4
        .value_kind:     by_value
    .group_segment_fixed_size: 16352
    .kernarg_segment_align: 8
    .kernarg_segment_size: 24
    .language:       OpenCL C
    .language_version:
      - 2
      - 0
    .max_flat_workgroup_size: 510
    .name:           _Z11rank_kernelILj510ELj1ELj4ELb1EL18RadixRankAlgorithm1ExEvPKT4_Pijj
    .private_segment_fixed_size: 0
    .sgpr_count:     17
    .sgpr_spill_count: 0
    .symbol:         _Z11rank_kernelILj510ELj1ELj4ELb1EL18RadixRankAlgorithm1ExEvPKT4_Pijj.kd
    .uniform_work_group_size: 1
    .uses_dynamic_stack: false
    .vgpr_count:     18
    .vgpr_spill_count: 0
    .wavefront_size: 64
  - .agpr_count:     0
    .args:
      - .address_space:  global
        .offset:         0
        .size:           8
        .value_kind:     global_buffer
      - .address_space:  global
        .offset:         8
        .size:           8
        .value_kind:     global_buffer
      - .offset:         16
        .size:           4
        .value_kind:     by_value
      - .offset:         20
        .size:           4
        .value_kind:     by_value
    .group_segment_fixed_size: 1200
    .kernarg_segment_align: 8
    .kernarg_segment_size: 24
    .language:       OpenCL C
    .language_version:
      - 2
      - 0
    .max_flat_workgroup_size: 37
    .name:           _Z11rank_kernelILj37ELj1ELj4ELb0EL18RadixRankAlgorithm1EfEvPKT4_Pijj
    .private_segment_fixed_size: 0
    .sgpr_count:     20
    .sgpr_spill_count: 0
    .symbol:         _Z11rank_kernelILj37ELj1ELj4ELb0EL18RadixRankAlgorithm1EfEvPKT4_Pijj.kd
    .uniform_work_group_size: 1
    .uses_dynamic_stack: false
    .vgpr_count:     16
    .vgpr_spill_count: 0
    .wavefront_size: 64
  - .agpr_count:     0
    .args:
      - .address_space:  global
        .offset:         0
        .size:           8
        .value_kind:     global_buffer
      - .address_space:  global
        .offset:         8
        .size:           8
        .value_kind:     global_buffer
      - .offset:         16
        .size:           4
        .value_kind:     by_value
      - .offset:         20
        .size:           4
        .value_kind:     by_value
    .group_segment_fixed_size: 2096
    .kernarg_segment_align: 8
    .kernarg_segment_size: 24
    .language:       OpenCL C
    .language_version:
      - 2
      - 0
    .max_flat_workgroup_size: 65
    .name:           _Z11rank_kernelILj65ELj1ELj4ELb0EL18RadixRankAlgorithm1EdEvPKT4_Pijj
    .private_segment_fixed_size: 0
    .sgpr_count:     19
    .sgpr_spill_count: 0
    .symbol:         _Z11rank_kernelILj65ELj1ELj4ELb0EL18RadixRankAlgorithm1EdEvPKT4_Pijj.kd
    .uniform_work_group_size: 1
    .uses_dynamic_stack: false
    .vgpr_count:     17
    .vgpr_spill_count: 0
    .wavefront_size: 64
  - .agpr_count:     0
    .args:
      - .address_space:  global
        .offset:         0
        .size:           8
        .value_kind:     global_buffer
      - .address_space:  global
        .offset:         8
        .size:           8
        .value_kind:     global_buffer
      - .offset:         16
        .size:           4
        .value_kind:     by_value
      - .offset:         20
        .size:           4
        .value_kind:     by_value
    .group_segment_fixed_size: 16416
    .kernarg_segment_align: 8
    .kernarg_segment_size: 24
    .language:       OpenCL C
    .language_version:
      - 2
      - 0
    .max_flat_workgroup_size: 512
    .name:           _Z11rank_kernelILj512ELj1ELj4ELb1EL18RadixRankAlgorithm1EtEvPKT4_Pijj
    .private_segment_fixed_size: 0
    .sgpr_count:     16
    .sgpr_spill_count: 0
    .symbol:         _Z11rank_kernelILj512ELj1ELj4ELb1EL18RadixRankAlgorithm1EtEvPKT4_Pijj.kd
    .uniform_work_group_size: 1
    .uses_dynamic_stack: false
    .vgpr_count:     18
    .vgpr_spill_count: 0
    .wavefront_size: 64
  - .agpr_count:     0
    .args:
      - .address_space:  global
        .offset:         0
        .size:           8
        .value_kind:     global_buffer
      - .address_space:  global
        .offset:         8
        .size:           8
        .value_kind:     global_buffer
      - .offset:         16
        .size:           4
        .value_kind:     by_value
      - .offset:         20
        .size:           4
        .value_kind:     by_value
    .group_segment_fixed_size: 8208
    .kernarg_segment_align: 8
    .kernarg_segment_size: 24
    .language:       OpenCL C
    .language_version:
      - 2
      - 0
    .max_flat_workgroup_size: 256
    .name:           _Z11rank_kernelILj256ELj1ELj4ELb0EL18RadixRankAlgorithm1EfEvPKT4_Pijj
    .private_segment_fixed_size: 0
    .sgpr_count:     20
    .sgpr_spill_count: 0
    .symbol:         _Z11rank_kernelILj256ELj1ELj4ELb0EL18RadixRankAlgorithm1EfEvPKT4_Pijj.kd
    .uniform_work_group_size: 1
    .uses_dynamic_stack: false
    .vgpr_count:     18
    .vgpr_spill_count: 0
    .wavefront_size: 64
  - .agpr_count:     0
    .args:
      - .address_space:  global
        .offset:         0
        .size:           8
        .value_kind:     global_buffer
      - .address_space:  global
        .offset:         8
        .size:           8
        .value_kind:     global_buffer
      - .offset:         16
        .size:           4
        .value_kind:     by_value
      - .offset:         20
        .size:           4
        .value_kind:     by_value
    .group_segment_fixed_size: 4112
    .kernarg_segment_align: 8
    .kernarg_segment_size: 24
    .language:       OpenCL C
    .language_version:
      - 2
      - 0
    .max_flat_workgroup_size: 128
    .name:           _Z11rank_kernelILj128ELj1ELj4ELb0EL18RadixRankAlgorithm1E12hip_bfloat16EvPKT4_Pijj
    .private_segment_fixed_size: 0
    .sgpr_count:     20
    .sgpr_spill_count: 0
    .symbol:         _Z11rank_kernelILj128ELj1ELj4ELb0EL18RadixRankAlgorithm1E12hip_bfloat16EvPKT4_Pijj.kd
    .uniform_work_group_size: 1
    .uses_dynamic_stack: false
    .vgpr_count:     18
    .vgpr_spill_count: 0
    .wavefront_size: 64
  - .agpr_count:     0
    .args:
      - .address_space:  global
        .offset:         0
        .size:           8
        .value_kind:     global_buffer
      - .address_space:  global
        .offset:         8
        .size:           8
        .value_kind:     global_buffer
      - .offset:         16
        .size:           4
        .value_kind:     by_value
      - .offset:         20
        .size:           4
        .value_kind:     by_value
    .group_segment_fixed_size: 4112
    .kernarg_segment_align: 8
    .kernarg_segment_size: 24
    .language:       OpenCL C
    .language_version:
      - 2
      - 0
    .max_flat_workgroup_size: 128
    .name:           _Z11rank_kernelILj128ELj1ELj4ELb0EL18RadixRankAlgorithm1E6__halfEvPKT4_Pijj
    .private_segment_fixed_size: 0
    .sgpr_count:     20
    .sgpr_spill_count: 0
    .symbol:         _Z11rank_kernelILj128ELj1ELj4ELb0EL18RadixRankAlgorithm1E6__halfEvPKT4_Pijj.kd
    .uniform_work_group_size: 1
    .uses_dynamic_stack: false
    .vgpr_count:     18
    .vgpr_spill_count: 0
    .wavefront_size: 64
  - .agpr_count:     0
    .args:
      - .address_space:  global
        .offset:         0
        .size:           8
        .value_kind:     global_buffer
      - .address_space:  global
        .offset:         8
        .size:           8
        .value_kind:     global_buffer
      - .offset:         16
        .size:           4
        .value_kind:     by_value
      - .offset:         20
        .size:           4
        .value_kind:     by_value
    .group_segment_fixed_size: 2064
    .kernarg_segment_align: 8
    .kernarg_segment_size: 24
    .language:       OpenCL C
    .language_version:
      - 2
      - 0
    .max_flat_workgroup_size: 64
    .name:           _Z11rank_kernelILj64ELj1ELj4ELb0EL18RadixRankAlgorithm1EjEvPKT4_Pijj
    .private_segment_fixed_size: 0
    .sgpr_count:     22
    .sgpr_spill_count: 0
    .symbol:         _Z11rank_kernelILj64ELj1ELj4ELb0EL18RadixRankAlgorithm1EjEvPKT4_Pijj.kd
    .uniform_work_group_size: 1
    .uses_dynamic_stack: false
    .vgpr_count:     16
    .vgpr_spill_count: 0
    .wavefront_size: 64
  - .agpr_count:     0
    .args:
      - .address_space:  global
        .offset:         0
        .size:           8
        .value_kind:     global_buffer
      - .address_space:  global
        .offset:         8
        .size:           8
        .value_kind:     global_buffer
      - .offset:         16
        .size:           4
        .value_kind:     by_value
      - .offset:         20
        .size:           4
        .value_kind:     by_value
      - .offset:         24
        .size:           4
        .value_kind:     hidden_block_count_x
      - .offset:         28
        .size:           4
        .value_kind:     hidden_block_count_y
      - .offset:         32
        .size:           4
        .value_kind:     hidden_block_count_z
      - .offset:         36
        .size:           2
        .value_kind:     hidden_group_size_x
      - .offset:         38
        .size:           2
        .value_kind:     hidden_group_size_y
      - .offset:         40
        .size:           2
        .value_kind:     hidden_group_size_z
      - .offset:         42
        .size:           2
        .value_kind:     hidden_remainder_x
      - .offset:         44
        .size:           2
        .value_kind:     hidden_remainder_y
      - .offset:         46
        .size:           2
        .value_kind:     hidden_remainder_z
      - .offset:         64
        .size:           8
        .value_kind:     hidden_global_offset_x
      - .offset:         72
        .size:           8
        .value_kind:     hidden_global_offset_y
      - .offset:         80
        .size:           8
        .value_kind:     hidden_global_offset_z
      - .offset:         88
        .size:           2
        .value_kind:     hidden_grid_dims
    .group_segment_fixed_size: 1600
    .kernarg_segment_align: 8
    .kernarg_segment_size: 280
    .language:       OpenCL C
    .language_version:
      - 2
      - 0
    .max_flat_workgroup_size: 193
    .name:           _Z11rank_kernelILj193ELj2ELj4ELb1EL18RadixRankAlgorithm2E12hip_bfloat16EvPKT4_Pijj
    .private_segment_fixed_size: 0
    .sgpr_count:     18
    .sgpr_spill_count: 0
    .symbol:         _Z11rank_kernelILj193ELj2ELj4ELb1EL18RadixRankAlgorithm2E12hip_bfloat16EvPKT4_Pijj.kd
    .uniform_work_group_size: 1
    .uses_dynamic_stack: false
    .vgpr_count:     22
    .vgpr_spill_count: 0
    .wavefront_size: 64
  - .agpr_count:     0
    .args:
      - .address_space:  global
        .offset:         0
        .size:           8
        .value_kind:     global_buffer
      - .address_space:  global
        .offset:         8
        .size:           8
        .value_kind:     global_buffer
      - .offset:         16
        .size:           4
        .value_kind:     by_value
      - .offset:         20
        .size:           4
        .value_kind:     by_value
      - .offset:         24
        .size:           4
        .value_kind:     hidden_block_count_x
      - .offset:         28
        .size:           4
        .value_kind:     hidden_block_count_y
      - .offset:         32
        .size:           4
        .value_kind:     hidden_block_count_z
      - .offset:         36
        .size:           2
        .value_kind:     hidden_group_size_x
      - .offset:         38
        .size:           2
        .value_kind:     hidden_group_size_y
      - .offset:         40
        .size:           2
        .value_kind:     hidden_group_size_z
      - .offset:         42
        .size:           2
        .value_kind:     hidden_remainder_x
      - .offset:         44
        .size:           2
        .value_kind:     hidden_remainder_y
      - .offset:         46
        .size:           2
        .value_kind:     hidden_remainder_z
      - .offset:         64
        .size:           8
        .value_kind:     hidden_global_offset_x
      - .offset:         72
        .size:           8
        .value_kind:     hidden_global_offset_y
      - .offset:         80
        .size:           8
        .value_kind:     hidden_global_offset_z
      - .offset:         88
        .size:           2
        .value_kind:     hidden_grid_dims
    .group_segment_fixed_size: 1600
    .kernarg_segment_align: 8
    .kernarg_segment_size: 280
    .language:       OpenCL C
    .language_version:
      - 2
      - 0
    .max_flat_workgroup_size: 193
    .name:           _Z11rank_kernelILj193ELj2ELj4ELb1EL18RadixRankAlgorithm2E6__halfEvPKT4_Pijj
    .private_segment_fixed_size: 0
    .sgpr_count:     18
    .sgpr_spill_count: 0
    .symbol:         _Z11rank_kernelILj193ELj2ELj4ELb1EL18RadixRankAlgorithm2E6__halfEvPKT4_Pijj.kd
    .uniform_work_group_size: 1
    .uses_dynamic_stack: false
    .vgpr_count:     22
    .vgpr_spill_count: 0
    .wavefront_size: 64
  - .agpr_count:     0
    .args:
      - .address_space:  global
        .offset:         0
        .size:           8
        .value_kind:     global_buffer
      - .address_space:  global
        .offset:         8
        .size:           8
        .value_kind:     global_buffer
      - .offset:         16
        .size:           4
        .value_kind:     by_value
      - .offset:         20
        .size:           4
        .value_kind:     by_value
      - .offset:         24
        .size:           4
        .value_kind:     hidden_block_count_x
      - .offset:         28
        .size:           4
        .value_kind:     hidden_block_count_y
      - .offset:         32
        .size:           4
        .value_kind:     hidden_block_count_z
      - .offset:         36
        .size:           2
        .value_kind:     hidden_group_size_x
      - .offset:         38
        .size:           2
        .value_kind:     hidden_group_size_y
      - .offset:         40
        .size:           2
        .value_kind:     hidden_group_size_z
      - .offset:         42
        .size:           2
        .value_kind:     hidden_remainder_x
      - .offset:         44
        .size:           2
        .value_kind:     hidden_remainder_y
      - .offset:         46
        .size:           2
        .value_kind:     hidden_remainder_z
      - .offset:         64
        .size:           8
        .value_kind:     hidden_global_offset_x
      - .offset:         72
        .size:           8
        .value_kind:     hidden_global_offset_y
      - .offset:         80
        .size:           8
        .value_kind:     hidden_global_offset_z
      - .offset:         88
        .size:           2
        .value_kind:     hidden_grid_dims
    .group_segment_fixed_size: 1344
    .kernarg_segment_align: 8
    .kernarg_segment_size: 280
    .language:       OpenCL C
    .language_version:
      - 2
      - 0
    .max_flat_workgroup_size: 162
    .name:           _Z11rank_kernelILj162ELj2ELj6ELb1EL18RadixRankAlgorithm2EjEvPKT4_Pijj
    .private_segment_fixed_size: 0
    .sgpr_count:     16
    .sgpr_spill_count: 0
    .symbol:         _Z11rank_kernelILj162ELj2ELj6ELb1EL18RadixRankAlgorithm2EjEvPKT4_Pijj.kd
    .uniform_work_group_size: 1
    .uses_dynamic_stack: false
    .vgpr_count:     20
    .vgpr_spill_count: 0
    .wavefront_size: 64
  - .agpr_count:     0
    .args:
      - .address_space:  global
        .offset:         0
        .size:           8
        .value_kind:     global_buffer
      - .address_space:  global
        .offset:         8
        .size:           8
        .value_kind:     global_buffer
      - .offset:         16
        .size:           4
        .value_kind:     by_value
      - .offset:         20
        .size:           4
        .value_kind:     by_value
      - .offset:         24
        .size:           4
        .value_kind:     hidden_block_count_x
      - .offset:         28
        .size:           4
        .value_kind:     hidden_block_count_y
      - .offset:         32
        .size:           4
        .value_kind:     hidden_block_count_z
      - .offset:         36
        .size:           2
        .value_kind:     hidden_group_size_x
      - .offset:         38
        .size:           2
        .value_kind:     hidden_group_size_y
      - .offset:         40
        .size:           2
        .value_kind:     hidden_group_size_z
      - .offset:         42
        .size:           2
        .value_kind:     hidden_remainder_x
      - .offset:         44
        .size:           2
        .value_kind:     hidden_remainder_y
      - .offset:         46
        .size:           2
        .value_kind:     hidden_remainder_z
      - .offset:         64
        .size:           8
        .value_kind:     hidden_global_offset_x
      - .offset:         72
        .size:           8
        .value_kind:     hidden_global_offset_y
      - .offset:         80
        .size:           8
        .value_kind:     hidden_global_offset_z
      - .offset:         88
        .size:           2
        .value_kind:     hidden_grid_dims
    .group_segment_fixed_size: 256
    .kernarg_segment_align: 8
    .kernarg_segment_size: 280
    .language:       OpenCL C
    .language_version:
      - 2
      - 0
    .max_flat_workgroup_size: 60
    .name:           _Z11rank_kernelILj60ELj1ELj3ELb1EL18RadixRankAlgorithm2EfEvPKT4_Pijj
    .private_segment_fixed_size: 0
    .sgpr_count:     15
    .sgpr_spill_count: 0
    .symbol:         _Z11rank_kernelILj60ELj1ELj3ELb1EL18RadixRankAlgorithm2EfEvPKT4_Pijj.kd
    .uniform_work_group_size: 1
    .uses_dynamic_stack: false
    .vgpr_count:     11
    .vgpr_spill_count: 0
    .wavefront_size: 64
  - .agpr_count:     0
    .args:
      - .address_space:  global
        .offset:         0
        .size:           8
        .value_kind:     global_buffer
      - .address_space:  global
        .offset:         8
        .size:           8
        .value_kind:     global_buffer
      - .offset:         16
        .size:           4
        .value_kind:     by_value
      - .offset:         20
        .size:           4
        .value_kind:     by_value
      - .offset:         24
        .size:           4
        .value_kind:     hidden_block_count_x
      - .offset:         28
        .size:           4
        .value_kind:     hidden_block_count_y
      - .offset:         32
        .size:           4
        .value_kind:     hidden_block_count_z
      - .offset:         36
        .size:           2
        .value_kind:     hidden_group_size_x
      - .offset:         38
        .size:           2
        .value_kind:     hidden_group_size_y
      - .offset:         40
        .size:           2
        .value_kind:     hidden_group_size_z
      - .offset:         42
        .size:           2
        .value_kind:     hidden_remainder_x
      - .offset:         44
        .size:           2
        .value_kind:     hidden_remainder_y
      - .offset:         46
        .size:           2
        .value_kind:     hidden_remainder_z
      - .offset:         64
        .size:           8
        .value_kind:     hidden_global_offset_x
      - .offset:         72
        .size:           8
        .value_kind:     hidden_global_offset_y
      - .offset:         80
        .size:           8
        .value_kind:     hidden_global_offset_z
      - .offset:         88
        .size:           2
        .value_kind:     hidden_grid_dims
    .group_segment_fixed_size: 1232
    .kernarg_segment_align: 8
    .kernarg_segment_size: 280
    .language:       OpenCL C
    .language_version:
      - 2
      - 0
    .max_flat_workgroup_size: 102
    .name:           _Z11rank_kernelILj102ELj3ELj3ELb1EL18RadixRankAlgorithm2EtEvPKT4_Pijj
    .private_segment_fixed_size: 0
    .sgpr_count:     16
    .sgpr_spill_count: 0
    .symbol:         _Z11rank_kernelILj102ELj3ELj3ELb1EL18RadixRankAlgorithm2EtEvPKT4_Pijj.kd
    .uniform_work_group_size: 1
    .uses_dynamic_stack: false
    .vgpr_count:     22
    .vgpr_spill_count: 0
    .wavefront_size: 64
  - .agpr_count:     0
    .args:
      - .address_space:  global
        .offset:         0
        .size:           8
        .value_kind:     global_buffer
      - .address_space:  global
        .offset:         8
        .size:           8
        .value_kind:     global_buffer
      - .offset:         16
        .size:           4
        .value_kind:     by_value
      - .offset:         20
        .size:           4
        .value_kind:     by_value
      - .offset:         24
        .size:           4
        .value_kind:     hidden_block_count_x
      - .offset:         28
        .size:           4
        .value_kind:     hidden_block_count_y
      - .offset:         32
        .size:           4
        .value_kind:     hidden_block_count_z
      - .offset:         36
        .size:           2
        .value_kind:     hidden_group_size_x
      - .offset:         38
        .size:           2
        .value_kind:     hidden_group_size_y
      - .offset:         40
        .size:           2
        .value_kind:     hidden_group_size_z
      - .offset:         42
        .size:           2
        .value_kind:     hidden_remainder_x
      - .offset:         44
        .size:           2
        .value_kind:     hidden_remainder_y
      - .offset:         46
        .size:           2
        .value_kind:     hidden_remainder_z
      - .offset:         64
        .size:           8
        .value_kind:     hidden_global_offset_x
      - .offset:         72
        .size:           8
        .value_kind:     hidden_global_offset_y
      - .offset:         80
        .size:           8
        .value_kind:     hidden_global_offset_z
      - .offset:         88
        .size:           2
        .value_kind:     hidden_grid_dims
    .group_segment_fixed_size: 512
    .kernarg_segment_align: 8
    .kernarg_segment_size: 280
    .language:       OpenCL C
    .language_version:
      - 2
      - 0
    .max_flat_workgroup_size: 64
    .name:           _Z11rank_kernelILj64ELj1ELj5ELb0EL18RadixRankAlgorithm2EyEvPKT4_Pijj
    .private_segment_fixed_size: 0
    .sgpr_count:     16
    .sgpr_spill_count: 0
    .symbol:         _Z11rank_kernelILj64ELj1ELj5ELb0EL18RadixRankAlgorithm2EyEvPKT4_Pijj.kd
    .uniform_work_group_size: 1
    .uses_dynamic_stack: false
    .vgpr_count:     13
    .vgpr_spill_count: 0
    .wavefront_size: 64
  - .agpr_count:     0
    .args:
      - .address_space:  global
        .offset:         0
        .size:           8
        .value_kind:     global_buffer
      - .address_space:  global
        .offset:         8
        .size:           8
        .value_kind:     global_buffer
      - .offset:         16
        .size:           4
        .value_kind:     by_value
      - .offset:         20
        .size:           4
        .value_kind:     by_value
      - .offset:         24
        .size:           4
        .value_kind:     hidden_block_count_x
      - .offset:         28
        .size:           4
        .value_kind:     hidden_block_count_y
      - .offset:         32
        .size:           4
        .value_kind:     hidden_block_count_z
      - .offset:         36
        .size:           2
        .value_kind:     hidden_group_size_x
      - .offset:         38
        .size:           2
        .value_kind:     hidden_group_size_y
      - .offset:         40
        .size:           2
        .value_kind:     hidden_group_size_z
      - .offset:         42
        .size:           2
        .value_kind:     hidden_remainder_x
      - .offset:         44
        .size:           2
        .value_kind:     hidden_remainder_y
      - .offset:         46
        .size:           2
        .value_kind:     hidden_remainder_z
      - .offset:         64
        .size:           8
        .value_kind:     hidden_global_offset_x
      - .offset:         72
        .size:           8
        .value_kind:     hidden_global_offset_y
      - .offset:         80
        .size:           8
        .value_kind:     hidden_global_offset_z
      - .offset:         88
        .size:           2
        .value_kind:     hidden_grid_dims
    .group_segment_fixed_size: 8432
    .kernarg_segment_align: 8
    .kernarg_segment_size: 280
    .language:       OpenCL C
    .language_version:
      - 2
      - 0
    .max_flat_workgroup_size: 234
    .name:           _Z11rank_kernelILj234ELj9ELj4ELb0EL18RadixRankAlgorithm2E12hip_bfloat16EvPKT4_Pijj
    .private_segment_fixed_size: 0
    .sgpr_count:     18
    .sgpr_spill_count: 0
    .symbol:         _Z11rank_kernelILj234ELj9ELj4ELb0EL18RadixRankAlgorithm2E12hip_bfloat16EvPKT4_Pijj.kd
    .uniform_work_group_size: 1
    .uses_dynamic_stack: false
    .vgpr_count:     40
    .vgpr_spill_count: 0
    .wavefront_size: 64
  - .agpr_count:     0
    .args:
      - .address_space:  global
        .offset:         0
        .size:           8
        .value_kind:     global_buffer
      - .address_space:  global
        .offset:         8
        .size:           8
        .value_kind:     global_buffer
      - .offset:         16
        .size:           4
        .value_kind:     by_value
      - .offset:         20
        .size:           4
        .value_kind:     by_value
      - .offset:         24
        .size:           4
        .value_kind:     hidden_block_count_x
      - .offset:         28
        .size:           4
        .value_kind:     hidden_block_count_y
      - .offset:         32
        .size:           4
        .value_kind:     hidden_block_count_z
      - .offset:         36
        .size:           2
        .value_kind:     hidden_group_size_x
      - .offset:         38
        .size:           2
        .value_kind:     hidden_group_size_y
      - .offset:         40
        .size:           2
        .value_kind:     hidden_group_size_z
      - .offset:         42
        .size:           2
        .value_kind:     hidden_remainder_x
      - .offset:         44
        .size:           2
        .value_kind:     hidden_remainder_y
      - .offset:         46
        .size:           2
        .value_kind:     hidden_remainder_z
      - .offset:         64
        .size:           8
        .value_kind:     hidden_global_offset_x
      - .offset:         72
        .size:           8
        .value_kind:     hidden_global_offset_y
      - .offset:         80
        .size:           8
        .value_kind:     hidden_global_offset_z
      - .offset:         88
        .size:           2
        .value_kind:     hidden_grid_dims
    .group_segment_fixed_size: 8432
    .kernarg_segment_align: 8
    .kernarg_segment_size: 280
    .language:       OpenCL C
    .language_version:
      - 2
      - 0
    .max_flat_workgroup_size: 234
    .name:           _Z11rank_kernelILj234ELj9ELj4ELb0EL18RadixRankAlgorithm2E6__halfEvPKT4_Pijj
    .private_segment_fixed_size: 0
    .sgpr_count:     18
    .sgpr_spill_count: 0
    .symbol:         _Z11rank_kernelILj234ELj9ELj4ELb0EL18RadixRankAlgorithm2E6__halfEvPKT4_Pijj.kd
    .uniform_work_group_size: 1
    .uses_dynamic_stack: false
    .vgpr_count:     40
    .vgpr_spill_count: 0
    .wavefront_size: 64
  - .agpr_count:     0
    .args:
      - .address_space:  global
        .offset:         0
        .size:           8
        .value_kind:     global_buffer
      - .address_space:  global
        .offset:         8
        .size:           8
        .value_kind:     global_buffer
      - .offset:         16
        .size:           4
        .value_kind:     by_value
      - .offset:         20
        .size:           4
        .value_kind:     by_value
      - .offset:         24
        .size:           4
        .value_kind:     hidden_block_count_x
      - .offset:         28
        .size:           4
        .value_kind:     hidden_block_count_y
      - .offset:         32
        .size:           4
        .value_kind:     hidden_block_count_z
      - .offset:         36
        .size:           2
        .value_kind:     hidden_group_size_x
      - .offset:         38
        .size:           2
        .value_kind:     hidden_group_size_y
      - .offset:         40
        .size:           2
        .value_kind:     hidden_group_size_z
      - .offset:         42
        .size:           2
        .value_kind:     hidden_remainder_x
      - .offset:         44
        .size:           2
        .value_kind:     hidden_remainder_y
      - .offset:         46
        .size:           2
        .value_kind:     hidden_remainder_z
      - .offset:         64
        .size:           8
        .value_kind:     hidden_global_offset_x
      - .offset:         72
        .size:           8
        .value_kind:     hidden_global_offset_y
      - .offset:         80
        .size:           8
        .value_kind:     hidden_global_offset_z
      - .offset:         88
        .size:           2
        .value_kind:     hidden_grid_dims
    .group_segment_fixed_size: 1200
    .kernarg_segment_align: 8
    .kernarg_segment_size: 280
    .language:       OpenCL C
    .language_version:
      - 2
      - 0
    .max_flat_workgroup_size: 100
    .name:           _Z11rank_kernelILj100ELj3ELj4ELb0EL18RadixRankAlgorithm2EtEvPKT4_Pijj
    .private_segment_fixed_size: 0
    .sgpr_count:     16
    .sgpr_spill_count: 0
    .symbol:         _Z11rank_kernelILj100ELj3ELj4ELb0EL18RadixRankAlgorithm2EtEvPKT4_Pijj.kd
    .uniform_work_group_size: 1
    .uses_dynamic_stack: false
    .vgpr_count:     22
    .vgpr_spill_count: 0
    .wavefront_size: 64
  - .agpr_count:     0
    .args:
      - .address_space:  global
        .offset:         0
        .size:           8
        .value_kind:     global_buffer
      - .address_space:  global
        .offset:         8
        .size:           8
        .value_kind:     global_buffer
      - .offset:         16
        .size:           4
        .value_kind:     by_value
      - .offset:         20
        .size:           4
        .value_kind:     by_value
      - .offset:         24
        .size:           4
        .value_kind:     hidden_block_count_x
      - .offset:         28
        .size:           4
        .value_kind:     hidden_block_count_y
      - .offset:         32
        .size:           4
        .value_kind:     hidden_block_count_z
      - .offset:         36
        .size:           2
        .value_kind:     hidden_group_size_x
      - .offset:         38
        .size:           2
        .value_kind:     hidden_group_size_y
      - .offset:         40
        .size:           2
        .value_kind:     hidden_group_size_z
      - .offset:         42
        .size:           2
        .value_kind:     hidden_remainder_x
      - .offset:         44
        .size:           2
        .value_kind:     hidden_remainder_y
      - .offset:         46
        .size:           2
        .value_kind:     hidden_remainder_z
      - .offset:         64
        .size:           8
        .value_kind:     hidden_global_offset_x
      - .offset:         72
        .size:           8
        .value_kind:     hidden_global_offset_y
      - .offset:         80
        .size:           8
        .value_kind:     hidden_global_offset_z
      - .offset:         88
        .size:           2
        .value_kind:     hidden_grid_dims
    .group_segment_fixed_size: 3840
    .kernarg_segment_align: 8
    .kernarg_segment_size: 280
    .language:       OpenCL C
    .language_version:
      - 2
      - 0
    .max_flat_workgroup_size: 464
    .name:           _Z11rank_kernelILj464ELj2ELj4ELb1EL18RadixRankAlgorithm2EcEvPKT4_Pijj
    .private_segment_fixed_size: 0
    .sgpr_count:     16
    .sgpr_spill_count: 0
    .symbol:         _Z11rank_kernelILj464ELj2ELj4ELb1EL18RadixRankAlgorithm2EcEvPKT4_Pijj.kd
    .uniform_work_group_size: 1
    .uses_dynamic_stack: false
    .vgpr_count:     21
    .vgpr_spill_count: 0
    .wavefront_size: 64
  - .agpr_count:     0
    .args:
      - .address_space:  global
        .offset:         0
        .size:           8
        .value_kind:     global_buffer
      - .address_space:  global
        .offset:         8
        .size:           8
        .value_kind:     global_buffer
      - .offset:         16
        .size:           4
        .value_kind:     by_value
      - .offset:         20
        .size:           4
        .value_kind:     by_value
      - .offset:         24
        .size:           4
        .value_kind:     hidden_block_count_x
      - .offset:         28
        .size:           4
        .value_kind:     hidden_block_count_y
      - .offset:         32
        .size:           4
        .value_kind:     hidden_block_count_z
      - .offset:         36
        .size:           2
        .value_kind:     hidden_group_size_x
      - .offset:         38
        .size:           2
        .value_kind:     hidden_group_size_y
      - .offset:         40
        .size:           2
        .value_kind:     hidden_group_size_z
      - .offset:         42
        .size:           2
        .value_kind:     hidden_remainder_x
      - .offset:         44
        .size:           2
        .value_kind:     hidden_remainder_y
      - .offset:         46
        .size:           2
        .value_kind:     hidden_remainder_z
      - .offset:         64
        .size:           8
        .value_kind:     hidden_global_offset_x
      - .offset:         72
        .size:           8
        .value_kind:     hidden_global_offset_y
      - .offset:         80
        .size:           8
        .value_kind:     hidden_global_offset_z
      - .offset:         88
        .size:           2
        .value_kind:     hidden_grid_dims
    .group_segment_fixed_size: 1328
    .kernarg_segment_align: 8
    .kernarg_segment_size: 280
    .language:       OpenCL C
    .language_version:
      - 2
      - 0
    .max_flat_workgroup_size: 33
    .name:           _Z11rank_kernelILj33ELj5ELj4ELb0EL18RadixRankAlgorithm2EdEvPKT4_Pijj
    .private_segment_fixed_size: 0
    .sgpr_count:     18
    .sgpr_spill_count: 0
    .symbol:         _Z11rank_kernelILj33ELj5ELj4ELb0EL18RadixRankAlgorithm2EdEvPKT4_Pijj.kd
    .uniform_work_group_size: 1
    .uses_dynamic_stack: false
    .vgpr_count:     26
    .vgpr_spill_count: 0
    .wavefront_size: 64
  - .agpr_count:     0
    .args:
      - .address_space:  global
        .offset:         0
        .size:           8
        .value_kind:     global_buffer
      - .address_space:  global
        .offset:         8
        .size:           8
        .value_kind:     global_buffer
      - .offset:         16
        .size:           4
        .value_kind:     by_value
      - .offset:         20
        .size:           4
        .value_kind:     by_value
      - .offset:         24
        .size:           4
        .value_kind:     hidden_block_count_x
      - .offset:         28
        .size:           4
        .value_kind:     hidden_block_count_y
      - .offset:         32
        .size:           4
        .value_kind:     hidden_block_count_z
      - .offset:         36
        .size:           2
        .value_kind:     hidden_group_size_x
      - .offset:         38
        .size:           2
        .value_kind:     hidden_group_size_y
      - .offset:         40
        .size:           2
        .value_kind:     hidden_group_size_z
      - .offset:         42
        .size:           2
        .value_kind:     hidden_remainder_x
      - .offset:         44
        .size:           2
        .value_kind:     hidden_remainder_y
      - .offset:         46
        .size:           2
        .value_kind:     hidden_remainder_z
      - .offset:         64
        .size:           8
        .value_kind:     hidden_global_offset_x
      - .offset:         72
        .size:           8
        .value_kind:     hidden_global_offset_y
      - .offset:         80
        .size:           8
        .value_kind:     hidden_global_offset_z
      - .offset:         88
        .size:           2
        .value_kind:     hidden_grid_dims
    .group_segment_fixed_size: 4224
    .kernarg_segment_align: 8
    .kernarg_segment_size: 280
    .language:       OpenCL C
    .language_version:
      - 2
      - 0
    .max_flat_workgroup_size: 512
    .name:           _Z11rank_kernelILj512ELj2ELj4ELb0EL18RadixRankAlgorithm2EfEvPKT4_Pijj
    .private_segment_fixed_size: 0
    .sgpr_count:     18
    .sgpr_spill_count: 0
    .symbol:         _Z11rank_kernelILj512ELj2ELj4ELb0EL18RadixRankAlgorithm2EfEvPKT4_Pijj.kd
    .uniform_work_group_size: 1
    .uses_dynamic_stack: false
    .vgpr_count:     19
    .vgpr_spill_count: 0
    .wavefront_size: 64
  - .agpr_count:     0
    .args:
      - .address_space:  global
        .offset:         0
        .size:           8
        .value_kind:     global_buffer
      - .address_space:  global
        .offset:         8
        .size:           8
        .value_kind:     global_buffer
      - .offset:         16
        .size:           4
        .value_kind:     by_value
      - .offset:         20
        .size:           4
        .value_kind:     by_value
      - .offset:         24
        .size:           4
        .value_kind:     hidden_block_count_x
      - .offset:         28
        .size:           4
        .value_kind:     hidden_block_count_y
      - .offset:         32
        .size:           4
        .value_kind:     hidden_block_count_z
      - .offset:         36
        .size:           2
        .value_kind:     hidden_group_size_x
      - .offset:         38
        .size:           2
        .value_kind:     hidden_group_size_y
      - .offset:         40
        .size:           2
        .value_kind:     hidden_group_size_z
      - .offset:         42
        .size:           2
        .value_kind:     hidden_remainder_x
      - .offset:         44
        .size:           2
        .value_kind:     hidden_remainder_y
      - .offset:         46
        .size:           2
        .value_kind:     hidden_remainder_z
      - .offset:         64
        .size:           8
        .value_kind:     hidden_global_offset_x
      - .offset:         72
        .size:           8
        .value_kind:     hidden_global_offset_y
      - .offset:         80
        .size:           8
        .value_kind:     hidden_global_offset_z
      - .offset:         88
        .size:           2
        .value_kind:     hidden_grid_dims
    .group_segment_fixed_size: 7168
    .kernarg_segment_align: 8
    .kernarg_segment_size: 280
    .language:       OpenCL C
    .language_version:
      - 2
      - 0
    .max_flat_workgroup_size: 256
    .name:           _Z11rank_kernelILj256ELj7ELj4ELb0EL18RadixRankAlgorithm2EtEvPKT4_Pijj
    .private_segment_fixed_size: 0
    .sgpr_count:     16
    .sgpr_spill_count: 0
    .symbol:         _Z11rank_kernelILj256ELj7ELj4ELb0EL18RadixRankAlgorithm2EtEvPKT4_Pijj.kd
    .uniform_work_group_size: 1
    .uses_dynamic_stack: false
    .vgpr_count:     32
    .vgpr_spill_count: 0
    .wavefront_size: 64
  - .agpr_count:     0
    .args:
      - .address_space:  global
        .offset:         0
        .size:           8
        .value_kind:     global_buffer
      - .address_space:  global
        .offset:         8
        .size:           8
        .value_kind:     global_buffer
      - .offset:         16
        .size:           4
        .value_kind:     by_value
      - .offset:         20
        .size:           4
        .value_kind:     by_value
      - .offset:         24
        .size:           4
        .value_kind:     hidden_block_count_x
      - .offset:         28
        .size:           4
        .value_kind:     hidden_block_count_y
      - .offset:         32
        .size:           4
        .value_kind:     hidden_block_count_z
      - .offset:         36
        .size:           2
        .value_kind:     hidden_group_size_x
      - .offset:         38
        .size:           2
        .value_kind:     hidden_group_size_y
      - .offset:         40
        .size:           2
        .value_kind:     hidden_group_size_z
      - .offset:         42
        .size:           2
        .value_kind:     hidden_remainder_x
      - .offset:         44
        .size:           2
        .value_kind:     hidden_remainder_y
      - .offset:         46
        .size:           2
        .value_kind:     hidden_remainder_z
      - .offset:         64
        .size:           8
        .value_kind:     hidden_global_offset_x
      - .offset:         72
        .size:           8
        .value_kind:     hidden_global_offset_y
      - .offset:         80
        .size:           8
        .value_kind:     hidden_global_offset_z
      - .offset:         88
        .size:           2
        .value_kind:     hidden_grid_dims
    .group_segment_fixed_size: 2112
    .kernarg_segment_align: 8
    .kernarg_segment_size: 280
    .language:       OpenCL C
    .language_version:
      - 2
      - 0
    .max_flat_workgroup_size: 128
    .name:           _Z11rank_kernelILj128ELj4ELj4ELb0EL18RadixRankAlgorithm2EiEvPKT4_Pijj
    .private_segment_fixed_size: 0
    .sgpr_count:     16
    .sgpr_spill_count: 0
    .symbol:         _Z11rank_kernelILj128ELj4ELj4ELb0EL18RadixRankAlgorithm2EiEvPKT4_Pijj.kd
    .uniform_work_group_size: 1
    .uses_dynamic_stack: false
    .vgpr_count:     25
    .vgpr_spill_count: 0
    .wavefront_size: 64
  - .agpr_count:     0
    .args:
      - .address_space:  global
        .offset:         0
        .size:           8
        .value_kind:     global_buffer
      - .address_space:  global
        .offset:         8
        .size:           8
        .value_kind:     global_buffer
      - .offset:         16
        .size:           4
        .value_kind:     by_value
      - .offset:         20
        .size:           4
        .value_kind:     by_value
      - .offset:         24
        .size:           4
        .value_kind:     hidden_block_count_x
      - .offset:         28
        .size:           4
        .value_kind:     hidden_block_count_y
      - .offset:         32
        .size:           4
        .value_kind:     hidden_block_count_z
      - .offset:         36
        .size:           2
        .value_kind:     hidden_group_size_x
      - .offset:         38
        .size:           2
        .value_kind:     hidden_group_size_y
      - .offset:         40
        .size:           2
        .value_kind:     hidden_group_size_z
      - .offset:         42
        .size:           2
        .value_kind:     hidden_remainder_x
      - .offset:         44
        .size:           2
        .value_kind:     hidden_remainder_y
      - .offset:         46
        .size:           2
        .value_kind:     hidden_remainder_z
      - .offset:         64
        .size:           8
        .value_kind:     hidden_global_offset_x
      - .offset:         72
        .size:           8
        .value_kind:     hidden_global_offset_y
      - .offset:         80
        .size:           8
        .value_kind:     hidden_global_offset_z
      - .offset:         88
        .size:           2
        .value_kind:     hidden_grid_dims
    .group_segment_fixed_size: 1056
    .kernarg_segment_align: 8
    .kernarg_segment_size: 280
    .language:       OpenCL C
    .language_version:
      - 2
      - 0
    .max_flat_workgroup_size: 64
    .name:           _Z11rank_kernelILj64ELj2ELj4ELb1EL18RadixRankAlgorithm2EyEvPKT4_Pijj
    .private_segment_fixed_size: 0
    .sgpr_count:     16
    .sgpr_spill_count: 0
    .symbol:         _Z11rank_kernelILj64ELj2ELj4ELb1EL18RadixRankAlgorithm2EyEvPKT4_Pijj.kd
    .uniform_work_group_size: 1
    .uses_dynamic_stack: false
    .vgpr_count:     17
    .vgpr_spill_count: 0
    .wavefront_size: 64
  - .agpr_count:     0
    .args:
      - .address_space:  global
        .offset:         0
        .size:           8
        .value_kind:     global_buffer
      - .address_space:  global
        .offset:         8
        .size:           8
        .value_kind:     global_buffer
      - .offset:         16
        .size:           4
        .value_kind:     by_value
      - .offset:         20
        .size:           4
        .value_kind:     by_value
      - .offset:         24
        .size:           4
        .value_kind:     hidden_block_count_x
      - .offset:         28
        .size:           4
        .value_kind:     hidden_block_count_y
      - .offset:         32
        .size:           4
        .value_kind:     hidden_block_count_z
      - .offset:         36
        .size:           2
        .value_kind:     hidden_group_size_x
      - .offset:         38
        .size:           2
        .value_kind:     hidden_group_size_y
      - .offset:         40
        .size:           2
        .value_kind:     hidden_group_size_z
      - .offset:         42
        .size:           2
        .value_kind:     hidden_remainder_x
      - .offset:         44
        .size:           2
        .value_kind:     hidden_remainder_y
      - .offset:         46
        .size:           2
        .value_kind:     hidden_remainder_z
      - .offset:         64
        .size:           8
        .value_kind:     hidden_global_offset_x
      - .offset:         72
        .size:           8
        .value_kind:     hidden_global_offset_y
      - .offset:         80
        .size:           8
        .value_kind:     hidden_global_offset_z
      - .offset:         88
        .size:           2
        .value_kind:     hidden_grid_dims
    .group_segment_fixed_size: 1040
    .kernarg_segment_align: 8
    .kernarg_segment_size: 280
    .language:       OpenCL C
    .language_version:
      - 2
      - 0
    .max_flat_workgroup_size: 255
    .name:           _Z11rank_kernelILj255ELj1ELj4ELb0EL18RadixRankAlgorithm2EhEvPKT4_Pijj
    .private_segment_fixed_size: 0
    .sgpr_count:     14
    .sgpr_spill_count: 0
    .symbol:         _Z11rank_kernelILj255ELj1ELj4ELb0EL18RadixRankAlgorithm2EhEvPKT4_Pijj.kd
    .uniform_work_group_size: 1
    .uses_dynamic_stack: false
    .vgpr_count:     13
    .vgpr_spill_count: 0
    .wavefront_size: 64
  - .agpr_count:     0
    .args:
      - .address_space:  global
        .offset:         0
        .size:           8
        .value_kind:     global_buffer
      - .address_space:  global
        .offset:         8
        .size:           8
        .value_kind:     global_buffer
      - .offset:         16
        .size:           4
        .value_kind:     by_value
      - .offset:         20
        .size:           4
        .value_kind:     by_value
      - .offset:         24
        .size:           4
        .value_kind:     hidden_block_count_x
      - .offset:         28
        .size:           4
        .value_kind:     hidden_block_count_y
      - .offset:         32
        .size:           4
        .value_kind:     hidden_block_count_z
      - .offset:         36
        .size:           2
        .value_kind:     hidden_group_size_x
      - .offset:         38
        .size:           2
        .value_kind:     hidden_group_size_y
      - .offset:         40
        .size:           2
        .value_kind:     hidden_group_size_z
      - .offset:         42
        .size:           2
        .value_kind:     hidden_remainder_x
      - .offset:         44
        .size:           2
        .value_kind:     hidden_remainder_y
      - .offset:         46
        .size:           2
        .value_kind:     hidden_remainder_z
      - .offset:         64
        .size:           8
        .value_kind:     hidden_global_offset_x
      - .offset:         72
        .size:           8
        .value_kind:     hidden_global_offset_y
      - .offset:         80
        .size:           8
        .value_kind:     hidden_global_offset_z
      - .offset:         88
        .size:           2
        .value_kind:     hidden_grid_dims
    .group_segment_fixed_size: 672
    .kernarg_segment_align: 8
    .kernarg_segment_size: 280
    .language:       OpenCL C
    .language_version:
      - 2
      - 0
    .max_flat_workgroup_size: 162
    .name:           _Z11rank_kernelILj162ELj1ELj4ELb0EL18RadixRankAlgorithm2EjEvPKT4_Pijj
    .private_segment_fixed_size: 0
    .sgpr_count:     14
    .sgpr_spill_count: 0
    .symbol:         _Z11rank_kernelILj162ELj1ELj4ELb0EL18RadixRankAlgorithm2EjEvPKT4_Pijj.kd
    .uniform_work_group_size: 1
    .uses_dynamic_stack: false
    .vgpr_count:     13
    .vgpr_spill_count: 0
    .wavefront_size: 64
  - .agpr_count:     0
    .args:
      - .address_space:  global
        .offset:         0
        .size:           8
        .value_kind:     global_buffer
      - .address_space:  global
        .offset:         8
        .size:           8
        .value_kind:     global_buffer
      - .offset:         16
        .size:           4
        .value_kind:     by_value
      - .offset:         20
        .size:           4
        .value_kind:     by_value
      - .offset:         24
        .size:           4
        .value_kind:     hidden_block_count_x
      - .offset:         28
        .size:           4
        .value_kind:     hidden_block_count_y
      - .offset:         32
        .size:           4
        .value_kind:     hidden_block_count_z
      - .offset:         36
        .size:           2
        .value_kind:     hidden_group_size_x
      - .offset:         38
        .size:           2
        .value_kind:     hidden_group_size_y
      - .offset:         40
        .size:           2
        .value_kind:     hidden_group_size_z
      - .offset:         42
        .size:           2
        .value_kind:     hidden_remainder_x
      - .offset:         44
        .size:           2
        .value_kind:     hidden_remainder_y
      - .offset:         46
        .size:           2
        .value_kind:     hidden_remainder_z
      - .offset:         64
        .size:           8
        .value_kind:     hidden_global_offset_x
      - .offset:         72
        .size:           8
        .value_kind:     hidden_global_offset_y
      - .offset:         80
        .size:           8
        .value_kind:     hidden_global_offset_z
      - .offset:         88
        .size:           2
        .value_kind:     hidden_grid_dims
    .group_segment_fixed_size: 4080
    .kernarg_segment_align: 8
    .kernarg_segment_size: 280
    .language:       OpenCL C
    .language_version:
      - 2
      - 0
    .max_flat_workgroup_size: 510
    .name:           _Z11rank_kernelILj510ELj1ELj4ELb1EL18RadixRankAlgorithm2ExEvPKT4_Pijj
    .private_segment_fixed_size: 0
    .sgpr_count:     16
    .sgpr_spill_count: 0
    .symbol:         _Z11rank_kernelILj510ELj1ELj4ELb1EL18RadixRankAlgorithm2ExEvPKT4_Pijj.kd
    .uniform_work_group_size: 1
    .uses_dynamic_stack: false
    .vgpr_count:     12
    .vgpr_spill_count: 0
    .wavefront_size: 64
  - .agpr_count:     0
    .args:
      - .address_space:  global
        .offset:         0
        .size:           8
        .value_kind:     global_buffer
      - .address_space:  global
        .offset:         8
        .size:           8
        .value_kind:     global_buffer
      - .offset:         16
        .size:           4
        .value_kind:     by_value
      - .offset:         20
        .size:           4
        .value_kind:     by_value
      - .offset:         24
        .size:           4
        .value_kind:     hidden_block_count_x
      - .offset:         28
        .size:           4
        .value_kind:     hidden_block_count_y
      - .offset:         32
        .size:           4
        .value_kind:     hidden_block_count_z
      - .offset:         36
        .size:           2
        .value_kind:     hidden_group_size_x
      - .offset:         38
        .size:           2
        .value_kind:     hidden_group_size_y
      - .offset:         40
        .size:           2
        .value_kind:     hidden_group_size_z
      - .offset:         42
        .size:           2
        .value_kind:     hidden_remainder_x
      - .offset:         44
        .size:           2
        .value_kind:     hidden_remainder_y
      - .offset:         46
        .size:           2
        .value_kind:     hidden_remainder_z
      - .offset:         64
        .size:           8
        .value_kind:     hidden_global_offset_x
      - .offset:         72
        .size:           8
        .value_kind:     hidden_global_offset_y
      - .offset:         80
        .size:           8
        .value_kind:     hidden_global_offset_z
      - .offset:         88
        .size:           2
        .value_kind:     hidden_grid_dims
    .group_segment_fixed_size: 160
    .kernarg_segment_align: 8
    .kernarg_segment_size: 280
    .language:       OpenCL C
    .language_version:
      - 2
      - 0
    .max_flat_workgroup_size: 37
    .name:           _Z11rank_kernelILj37ELj1ELj4ELb0EL18RadixRankAlgorithm2EfEvPKT4_Pijj
    .private_segment_fixed_size: 0
    .sgpr_count:     15
    .sgpr_spill_count: 0
    .symbol:         _Z11rank_kernelILj37ELj1ELj4ELb0EL18RadixRankAlgorithm2EfEvPKT4_Pijj.kd
    .uniform_work_group_size: 1
    .uses_dynamic_stack: false
    .vgpr_count:     12
    .vgpr_spill_count: 0
    .wavefront_size: 64
  - .agpr_count:     0
    .args:
      - .address_space:  global
        .offset:         0
        .size:           8
        .value_kind:     global_buffer
      - .address_space:  global
        .offset:         8
        .size:           8
        .value_kind:     global_buffer
      - .offset:         16
        .size:           4
        .value_kind:     by_value
      - .offset:         20
        .size:           4
        .value_kind:     by_value
      - .offset:         24
        .size:           4
        .value_kind:     hidden_block_count_x
      - .offset:         28
        .size:           4
        .value_kind:     hidden_block_count_y
      - .offset:         32
        .size:           4
        .value_kind:     hidden_block_count_z
      - .offset:         36
        .size:           2
        .value_kind:     hidden_group_size_x
      - .offset:         38
        .size:           2
        .value_kind:     hidden_group_size_y
      - .offset:         40
        .size:           2
        .value_kind:     hidden_group_size_z
      - .offset:         42
        .size:           2
        .value_kind:     hidden_remainder_x
      - .offset:         44
        .size:           2
        .value_kind:     hidden_remainder_y
      - .offset:         46
        .size:           2
        .value_kind:     hidden_remainder_z
      - .offset:         64
        .size:           8
        .value_kind:     hidden_global_offset_x
      - .offset:         72
        .size:           8
        .value_kind:     hidden_global_offset_y
      - .offset:         80
        .size:           8
        .value_kind:     hidden_global_offset_z
      - .offset:         88
        .size:           2
        .value_kind:     hidden_grid_dims
    .group_segment_fixed_size: 528
    .kernarg_segment_align: 8
    .kernarg_segment_size: 280
    .language:       OpenCL C
    .language_version:
      - 2
      - 0
    .max_flat_workgroup_size: 65
    .name:           _Z11rank_kernelILj65ELj1ELj4ELb0EL18RadixRankAlgorithm2EdEvPKT4_Pijj
    .private_segment_fixed_size: 0
    .sgpr_count:     16
    .sgpr_spill_count: 0
    .symbol:         _Z11rank_kernelILj65ELj1ELj4ELb0EL18RadixRankAlgorithm2EdEvPKT4_Pijj.kd
    .uniform_work_group_size: 1
    .uses_dynamic_stack: false
    .vgpr_count:     13
    .vgpr_spill_count: 0
    .wavefront_size: 64
  - .agpr_count:     0
    .args:
      - .address_space:  global
        .offset:         0
        .size:           8
        .value_kind:     global_buffer
      - .address_space:  global
        .offset:         8
        .size:           8
        .value_kind:     global_buffer
      - .offset:         16
        .size:           4
        .value_kind:     by_value
      - .offset:         20
        .size:           4
        .value_kind:     by_value
      - .offset:         24
        .size:           4
        .value_kind:     hidden_block_count_x
      - .offset:         28
        .size:           4
        .value_kind:     hidden_block_count_y
      - .offset:         32
        .size:           4
        .value_kind:     hidden_block_count_z
      - .offset:         36
        .size:           2
        .value_kind:     hidden_group_size_x
      - .offset:         38
        .size:           2
        .value_kind:     hidden_group_size_y
      - .offset:         40
        .size:           2
        .value_kind:     hidden_group_size_z
      - .offset:         42
        .size:           2
        .value_kind:     hidden_remainder_x
      - .offset:         44
        .size:           2
        .value_kind:     hidden_remainder_y
      - .offset:         46
        .size:           2
        .value_kind:     hidden_remainder_z
      - .offset:         64
        .size:           8
        .value_kind:     hidden_global_offset_x
      - .offset:         72
        .size:           8
        .value_kind:     hidden_global_offset_y
      - .offset:         80
        .size:           8
        .value_kind:     hidden_global_offset_z
      - .offset:         88
        .size:           2
        .value_kind:     hidden_grid_dims
    .group_segment_fixed_size: 2080
    .kernarg_segment_align: 8
    .kernarg_segment_size: 280
    .language:       OpenCL C
    .language_version:
      - 2
      - 0
    .max_flat_workgroup_size: 512
    .name:           _Z11rank_kernelILj512ELj1ELj4ELb1EL18RadixRankAlgorithm2EtEvPKT4_Pijj
    .private_segment_fixed_size: 0
    .sgpr_count:     16
    .sgpr_spill_count: 0
    .symbol:         _Z11rank_kernelILj512ELj1ELj4ELb1EL18RadixRankAlgorithm2EtEvPKT4_Pijj.kd
    .uniform_work_group_size: 1
    .uses_dynamic_stack: false
    .vgpr_count:     13
    .vgpr_spill_count: 0
    .wavefront_size: 64
  - .agpr_count:     0
    .args:
      - .address_space:  global
        .offset:         0
        .size:           8
        .value_kind:     global_buffer
      - .address_space:  global
        .offset:         8
        .size:           8
        .value_kind:     global_buffer
      - .offset:         16
        .size:           4
        .value_kind:     by_value
      - .offset:         20
        .size:           4
        .value_kind:     by_value
      - .offset:         24
        .size:           4
        .value_kind:     hidden_block_count_x
      - .offset:         28
        .size:           4
        .value_kind:     hidden_block_count_y
      - .offset:         32
        .size:           4
        .value_kind:     hidden_block_count_z
      - .offset:         36
        .size:           2
        .value_kind:     hidden_group_size_x
      - .offset:         38
        .size:           2
        .value_kind:     hidden_group_size_y
      - .offset:         40
        .size:           2
        .value_kind:     hidden_group_size_z
      - .offset:         42
        .size:           2
        .value_kind:     hidden_remainder_x
      - .offset:         44
        .size:           2
        .value_kind:     hidden_remainder_y
      - .offset:         46
        .size:           2
        .value_kind:     hidden_remainder_z
      - .offset:         64
        .size:           8
        .value_kind:     hidden_global_offset_x
      - .offset:         72
        .size:           8
        .value_kind:     hidden_global_offset_y
      - .offset:         80
        .size:           8
        .value_kind:     hidden_global_offset_z
      - .offset:         88
        .size:           2
        .value_kind:     hidden_grid_dims
    .group_segment_fixed_size: 1040
    .kernarg_segment_align: 8
    .kernarg_segment_size: 280
    .language:       OpenCL C
    .language_version:
      - 2
      - 0
    .max_flat_workgroup_size: 256
    .name:           _Z11rank_kernelILj256ELj1ELj4ELb0EL18RadixRankAlgorithm2EfEvPKT4_Pijj
    .private_segment_fixed_size: 0
    .sgpr_count:     15
    .sgpr_spill_count: 0
    .symbol:         _Z11rank_kernelILj256ELj1ELj4ELb0EL18RadixRankAlgorithm2EfEvPKT4_Pijj.kd
    .uniform_work_group_size: 1
    .uses_dynamic_stack: false
    .vgpr_count:     13
    .vgpr_spill_count: 0
    .wavefront_size: 64
  - .agpr_count:     0
    .args:
      - .address_space:  global
        .offset:         0
        .size:           8
        .value_kind:     global_buffer
      - .address_space:  global
        .offset:         8
        .size:           8
        .value_kind:     global_buffer
      - .offset:         16
        .size:           4
        .value_kind:     by_value
      - .offset:         20
        .size:           4
        .value_kind:     by_value
      - .offset:         24
        .size:           4
        .value_kind:     hidden_block_count_x
      - .offset:         28
        .size:           4
        .value_kind:     hidden_block_count_y
      - .offset:         32
        .size:           4
        .value_kind:     hidden_block_count_z
      - .offset:         36
        .size:           2
        .value_kind:     hidden_group_size_x
      - .offset:         38
        .size:           2
        .value_kind:     hidden_group_size_y
      - .offset:         40
        .size:           2
        .value_kind:     hidden_group_size_z
      - .offset:         42
        .size:           2
        .value_kind:     hidden_remainder_x
      - .offset:         44
        .size:           2
        .value_kind:     hidden_remainder_y
      - .offset:         46
        .size:           2
        .value_kind:     hidden_remainder_z
      - .offset:         64
        .size:           8
        .value_kind:     hidden_global_offset_x
      - .offset:         72
        .size:           8
        .value_kind:     hidden_global_offset_y
      - .offset:         80
        .size:           8
        .value_kind:     hidden_global_offset_z
      - .offset:         88
        .size:           2
        .value_kind:     hidden_grid_dims
    .group_segment_fixed_size: 528
    .kernarg_segment_align: 8
    .kernarg_segment_size: 280
    .language:       OpenCL C
    .language_version:
      - 2
      - 0
    .max_flat_workgroup_size: 128
    .name:           _Z11rank_kernelILj128ELj1ELj4ELb0EL18RadixRankAlgorithm2E12hip_bfloat16EvPKT4_Pijj
    .private_segment_fixed_size: 0
    .sgpr_count:     16
    .sgpr_spill_count: 0
    .symbol:         _Z11rank_kernelILj128ELj1ELj4ELb0EL18RadixRankAlgorithm2E12hip_bfloat16EvPKT4_Pijj.kd
    .uniform_work_group_size: 1
    .uses_dynamic_stack: false
    .vgpr_count:     13
    .vgpr_spill_count: 0
    .wavefront_size: 64
  - .agpr_count:     0
    .args:
      - .address_space:  global
        .offset:         0
        .size:           8
        .value_kind:     global_buffer
      - .address_space:  global
        .offset:         8
        .size:           8
        .value_kind:     global_buffer
      - .offset:         16
        .size:           4
        .value_kind:     by_value
      - .offset:         20
        .size:           4
        .value_kind:     by_value
      - .offset:         24
        .size:           4
        .value_kind:     hidden_block_count_x
      - .offset:         28
        .size:           4
        .value_kind:     hidden_block_count_y
      - .offset:         32
        .size:           4
        .value_kind:     hidden_block_count_z
      - .offset:         36
        .size:           2
        .value_kind:     hidden_group_size_x
      - .offset:         38
        .size:           2
        .value_kind:     hidden_group_size_y
      - .offset:         40
        .size:           2
        .value_kind:     hidden_group_size_z
      - .offset:         42
        .size:           2
        .value_kind:     hidden_remainder_x
      - .offset:         44
        .size:           2
        .value_kind:     hidden_remainder_y
      - .offset:         46
        .size:           2
        .value_kind:     hidden_remainder_z
      - .offset:         64
        .size:           8
        .value_kind:     hidden_global_offset_x
      - .offset:         72
        .size:           8
        .value_kind:     hidden_global_offset_y
      - .offset:         80
        .size:           8
        .value_kind:     hidden_global_offset_z
      - .offset:         88
        .size:           2
        .value_kind:     hidden_grid_dims
    .group_segment_fixed_size: 528
    .kernarg_segment_align: 8
    .kernarg_segment_size: 280
    .language:       OpenCL C
    .language_version:
      - 2
      - 0
    .max_flat_workgroup_size: 128
    .name:           _Z11rank_kernelILj128ELj1ELj4ELb0EL18RadixRankAlgorithm2E6__halfEvPKT4_Pijj
    .private_segment_fixed_size: 0
    .sgpr_count:     16
    .sgpr_spill_count: 0
    .symbol:         _Z11rank_kernelILj128ELj1ELj4ELb0EL18RadixRankAlgorithm2E6__halfEvPKT4_Pijj.kd
    .uniform_work_group_size: 1
    .uses_dynamic_stack: false
    .vgpr_count:     13
    .vgpr_spill_count: 0
    .wavefront_size: 64
  - .agpr_count:     0
    .args:
      - .address_space:  global
        .offset:         0
        .size:           8
        .value_kind:     global_buffer
      - .address_space:  global
        .offset:         8
        .size:           8
        .value_kind:     global_buffer
      - .offset:         16
        .size:           4
        .value_kind:     by_value
      - .offset:         20
        .size:           4
        .value_kind:     by_value
      - .offset:         24
        .size:           4
        .value_kind:     hidden_block_count_x
      - .offset:         28
        .size:           4
        .value_kind:     hidden_block_count_y
      - .offset:         32
        .size:           4
        .value_kind:     hidden_block_count_z
      - .offset:         36
        .size:           2
        .value_kind:     hidden_group_size_x
      - .offset:         38
        .size:           2
        .value_kind:     hidden_group_size_y
      - .offset:         40
        .size:           2
        .value_kind:     hidden_group_size_z
      - .offset:         42
        .size:           2
        .value_kind:     hidden_remainder_x
      - .offset:         44
        .size:           2
        .value_kind:     hidden_remainder_y
      - .offset:         46
        .size:           2
        .value_kind:     hidden_remainder_z
      - .offset:         64
        .size:           8
        .value_kind:     hidden_global_offset_x
      - .offset:         72
        .size:           8
        .value_kind:     hidden_global_offset_y
      - .offset:         80
        .size:           8
        .value_kind:     hidden_global_offset_z
      - .offset:         88
        .size:           2
        .value_kind:     hidden_grid_dims
    .group_segment_fixed_size: 272
    .kernarg_segment_align: 8
    .kernarg_segment_size: 280
    .language:       OpenCL C
    .language_version:
      - 2
      - 0
    .max_flat_workgroup_size: 64
    .name:           _Z11rank_kernelILj64ELj1ELj4ELb0EL18RadixRankAlgorithm2EjEvPKT4_Pijj
    .private_segment_fixed_size: 0
    .sgpr_count:     14
    .sgpr_spill_count: 0
    .symbol:         _Z11rank_kernelILj64ELj1ELj4ELb0EL18RadixRankAlgorithm2EjEvPKT4_Pijj.kd
    .uniform_work_group_size: 1
    .uses_dynamic_stack: false
    .vgpr_count:     12
    .vgpr_spill_count: 0
    .wavefront_size: 64
amdhsa.target:   amdgcn-amd-amdhsa--gfx90a
amdhsa.version:
  - 1
  - 2
...

	.end_amdgpu_metadata
